;; amdgpu-corpus repo=ROCm/rocFFT kind=compiled arch=gfx1201 opt=O3
	.text
	.amdgcn_target "amdgcn-amd-amdhsa--gfx1201"
	.amdhsa_code_object_version 6
	.protected	fft_rtc_fwd_len3240_factors_3_3_10_6_6_wgs_108_tpt_108_halfLds_dp_op_CI_CI_sbrr_dirReg ; -- Begin function fft_rtc_fwd_len3240_factors_3_3_10_6_6_wgs_108_tpt_108_halfLds_dp_op_CI_CI_sbrr_dirReg
	.globl	fft_rtc_fwd_len3240_factors_3_3_10_6_6_wgs_108_tpt_108_halfLds_dp_op_CI_CI_sbrr_dirReg
	.p2align	8
	.type	fft_rtc_fwd_len3240_factors_3_3_10_6_6_wgs_108_tpt_108_halfLds_dp_op_CI_CI_sbrr_dirReg,@function
fft_rtc_fwd_len3240_factors_3_3_10_6_6_wgs_108_tpt_108_halfLds_dp_op_CI_CI_sbrr_dirReg: ; @fft_rtc_fwd_len3240_factors_3_3_10_6_6_wgs_108_tpt_108_halfLds_dp_op_CI_CI_sbrr_dirReg
; %bb.0:
	s_clause 0x2
	s_load_b128 s[12:15], s[0:1], 0x18
	s_load_b128 s[8:11], s[0:1], 0x0
	;; [unrolled: 1-line block ×3, first 2 shown]
	v_mul_u32_u24_e32 v1, 0x25f, v0
	v_mov_b32_e32 v4, 0
	v_mov_b32_e32 v5, 0
	s_wait_kmcnt 0x0
	s_load_b64 s[18:19], s[12:13], 0x0
	s_load_b64 s[16:17], s[14:15], 0x0
	v_lshrrev_b32_e32 v2, 16, v1
	v_mov_b32_e32 v1, 0
	v_cmp_lt_u64_e64 s2, s[10:11], 2
	s_delay_alu instid0(VALU_DEP_2) | instskip(NEXT) | instid1(VALU_DEP_2)
	v_dual_mov_b32 v7, v1 :: v_dual_add_nc_u32 v6, ttmp9, v2
	s_and_b32 vcc_lo, exec_lo, s2
	s_cbranch_vccnz .LBB0_8
; %bb.1:
	s_load_b64 s[2:3], s[0:1], 0x10
	v_mov_b32_e32 v4, 0
	v_mov_b32_e32 v5, 0
	s_add_nc_u64 s[20:21], s[14:15], 8
	s_add_nc_u64 s[22:23], s[12:13], 8
	s_mov_b64 s[24:25], 1
	s_delay_alu instid0(VALU_DEP_1)
	v_dual_mov_b32 v189, v5 :: v_dual_mov_b32 v188, v4
	s_wait_kmcnt 0x0
	s_add_nc_u64 s[26:27], s[2:3], 8
	s_mov_b32 s3, 0
.LBB0_2:                                ; =>This Inner Loop Header: Depth=1
	s_load_b64 s[28:29], s[26:27], 0x0
                                        ; implicit-def: $vgpr140_vgpr141
	s_mov_b32 s2, exec_lo
	s_wait_kmcnt 0x0
	v_or_b32_e32 v2, s29, v7
	s_delay_alu instid0(VALU_DEP_1)
	v_cmpx_ne_u64_e32 0, v[1:2]
	s_wait_alu 0xfffe
	s_xor_b32 s30, exec_lo, s2
	s_cbranch_execz .LBB0_4
; %bb.3:                                ;   in Loop: Header=BB0_2 Depth=1
	s_cvt_f32_u32 s2, s28
	s_cvt_f32_u32 s31, s29
	s_sub_nc_u64 s[36:37], 0, s[28:29]
	s_wait_alu 0xfffe
	s_delay_alu instid0(SALU_CYCLE_1) | instskip(SKIP_1) | instid1(SALU_CYCLE_2)
	s_fmamk_f32 s2, s31, 0x4f800000, s2
	s_wait_alu 0xfffe
	v_s_rcp_f32 s2, s2
	s_delay_alu instid0(TRANS32_DEP_1) | instskip(SKIP_1) | instid1(SALU_CYCLE_2)
	s_mul_f32 s2, s2, 0x5f7ffffc
	s_wait_alu 0xfffe
	s_mul_f32 s31, s2, 0x2f800000
	s_wait_alu 0xfffe
	s_delay_alu instid0(SALU_CYCLE_2) | instskip(SKIP_1) | instid1(SALU_CYCLE_2)
	s_trunc_f32 s31, s31
	s_wait_alu 0xfffe
	s_fmamk_f32 s2, s31, 0xcf800000, s2
	s_cvt_u32_f32 s35, s31
	s_wait_alu 0xfffe
	s_delay_alu instid0(SALU_CYCLE_1) | instskip(SKIP_1) | instid1(SALU_CYCLE_2)
	s_cvt_u32_f32 s34, s2
	s_wait_alu 0xfffe
	s_mul_u64 s[38:39], s[36:37], s[34:35]
	s_wait_alu 0xfffe
	s_mul_hi_u32 s41, s34, s39
	s_mul_i32 s40, s34, s39
	s_mul_hi_u32 s2, s34, s38
	s_mul_i32 s33, s35, s38
	s_wait_alu 0xfffe
	s_add_nc_u64 s[40:41], s[2:3], s[40:41]
	s_mul_hi_u32 s31, s35, s38
	s_mul_hi_u32 s42, s35, s39
	s_add_co_u32 s2, s40, s33
	s_wait_alu 0xfffe
	s_add_co_ci_u32 s2, s41, s31
	s_mul_i32 s38, s35, s39
	s_add_co_ci_u32 s39, s42, 0
	s_wait_alu 0xfffe
	s_add_nc_u64 s[38:39], s[2:3], s[38:39]
	s_wait_alu 0xfffe
	v_add_co_u32 v2, s2, s34, s38
	s_delay_alu instid0(VALU_DEP_1) | instskip(SKIP_1) | instid1(VALU_DEP_1)
	s_cmp_lg_u32 s2, 0
	s_add_co_ci_u32 s35, s35, s39
	v_readfirstlane_b32 s34, v2
	s_wait_alu 0xfffe
	s_delay_alu instid0(VALU_DEP_1)
	s_mul_u64 s[36:37], s[36:37], s[34:35]
	s_wait_alu 0xfffe
	s_mul_hi_u32 s39, s34, s37
	s_mul_i32 s38, s34, s37
	s_mul_hi_u32 s2, s34, s36
	s_mul_i32 s33, s35, s36
	s_wait_alu 0xfffe
	s_add_nc_u64 s[38:39], s[2:3], s[38:39]
	s_mul_hi_u32 s31, s35, s36
	s_mul_hi_u32 s34, s35, s37
	s_wait_alu 0xfffe
	s_add_co_u32 s2, s38, s33
	s_add_co_ci_u32 s2, s39, s31
	s_mul_i32 s36, s35, s37
	s_add_co_ci_u32 s37, s34, 0
	s_wait_alu 0xfffe
	s_add_nc_u64 s[36:37], s[2:3], s[36:37]
	s_wait_alu 0xfffe
	v_add_co_u32 v8, s2, v2, s36
	s_delay_alu instid0(VALU_DEP_1) | instskip(SKIP_1) | instid1(VALU_DEP_1)
	s_cmp_lg_u32 s2, 0
	s_add_co_ci_u32 s2, s35, s37
	v_mul_hi_u32 v12, v6, v8
	s_wait_alu 0xfffe
	v_mad_co_u64_u32 v[2:3], null, v6, s2, 0
	v_mad_co_u64_u32 v[8:9], null, v7, v8, 0
	;; [unrolled: 1-line block ×3, first 2 shown]
	s_delay_alu instid0(VALU_DEP_3) | instskip(SKIP_1) | instid1(VALU_DEP_4)
	v_add_co_u32 v2, vcc_lo, v12, v2
	s_wait_alu 0xfffd
	v_add_co_ci_u32_e32 v3, vcc_lo, 0, v3, vcc_lo
	s_delay_alu instid0(VALU_DEP_2) | instskip(SKIP_1) | instid1(VALU_DEP_2)
	v_add_co_u32 v2, vcc_lo, v2, v8
	s_wait_alu 0xfffd
	v_add_co_ci_u32_e32 v2, vcc_lo, v3, v9, vcc_lo
	s_wait_alu 0xfffd
	v_add_co_ci_u32_e32 v3, vcc_lo, 0, v11, vcc_lo
	s_delay_alu instid0(VALU_DEP_2) | instskip(SKIP_1) | instid1(VALU_DEP_2)
	v_add_co_u32 v8, vcc_lo, v2, v10
	s_wait_alu 0xfffd
	v_add_co_ci_u32_e32 v9, vcc_lo, 0, v3, vcc_lo
	s_delay_alu instid0(VALU_DEP_2) | instskip(SKIP_1) | instid1(VALU_DEP_3)
	v_mul_lo_u32 v10, s29, v8
	v_mad_co_u64_u32 v[2:3], null, s28, v8, 0
	v_mul_lo_u32 v11, s28, v9
	s_delay_alu instid0(VALU_DEP_2) | instskip(NEXT) | instid1(VALU_DEP_2)
	v_sub_co_u32 v2, vcc_lo, v6, v2
	v_add3_u32 v3, v3, v11, v10
	s_delay_alu instid0(VALU_DEP_1) | instskip(SKIP_1) | instid1(VALU_DEP_1)
	v_sub_nc_u32_e32 v10, v7, v3
	s_wait_alu 0xfffd
	v_subrev_co_ci_u32_e64 v10, s2, s29, v10, vcc_lo
	v_add_co_u32 v11, s2, v8, 2
	s_wait_alu 0xf1ff
	v_add_co_ci_u32_e64 v12, s2, 0, v9, s2
	v_sub_co_u32 v13, s2, v2, s28
	v_sub_co_ci_u32_e32 v3, vcc_lo, v7, v3, vcc_lo
	s_wait_alu 0xf1ff
	v_subrev_co_ci_u32_e64 v10, s2, 0, v10, s2
	s_delay_alu instid0(VALU_DEP_3) | instskip(NEXT) | instid1(VALU_DEP_3)
	v_cmp_le_u32_e32 vcc_lo, s28, v13
	v_cmp_eq_u32_e64 s2, s29, v3
	s_wait_alu 0xfffd
	v_cndmask_b32_e64 v13, 0, -1, vcc_lo
	v_cmp_le_u32_e32 vcc_lo, s29, v10
	s_wait_alu 0xfffd
	v_cndmask_b32_e64 v14, 0, -1, vcc_lo
	v_cmp_le_u32_e32 vcc_lo, s28, v2
	;; [unrolled: 3-line block ×3, first 2 shown]
	s_wait_alu 0xfffd
	v_cndmask_b32_e64 v15, 0, -1, vcc_lo
	v_cmp_eq_u32_e32 vcc_lo, s29, v10
	s_wait_alu 0xf1ff
	s_delay_alu instid0(VALU_DEP_2)
	v_cndmask_b32_e64 v2, v15, v2, s2
	s_wait_alu 0xfffd
	v_cndmask_b32_e32 v10, v14, v13, vcc_lo
	v_add_co_u32 v13, vcc_lo, v8, 1
	s_wait_alu 0xfffd
	v_add_co_ci_u32_e32 v14, vcc_lo, 0, v9, vcc_lo
	s_delay_alu instid0(VALU_DEP_3) | instskip(SKIP_1) | instid1(VALU_DEP_2)
	v_cmp_ne_u32_e32 vcc_lo, 0, v10
	s_wait_alu 0xfffd
	v_dual_cndmask_b32 v3, v14, v12 :: v_dual_cndmask_b32 v10, v13, v11
	v_cmp_ne_u32_e32 vcc_lo, 0, v2
	s_wait_alu 0xfffd
	s_delay_alu instid0(VALU_DEP_2)
	v_dual_cndmask_b32 v141, v9, v3 :: v_dual_cndmask_b32 v140, v8, v10
.LBB0_4:                                ;   in Loop: Header=BB0_2 Depth=1
	s_wait_alu 0xfffe
	s_and_not1_saveexec_b32 s2, s30
	s_cbranch_execz .LBB0_6
; %bb.5:                                ;   in Loop: Header=BB0_2 Depth=1
	v_cvt_f32_u32_e32 v2, s28
	s_sub_co_i32 s30, 0, s28
	v_mov_b32_e32 v141, v1
	s_delay_alu instid0(VALU_DEP_2) | instskip(NEXT) | instid1(TRANS32_DEP_1)
	v_rcp_iflag_f32_e32 v2, v2
	v_mul_f32_e32 v2, 0x4f7ffffe, v2
	s_delay_alu instid0(VALU_DEP_1) | instskip(SKIP_1) | instid1(VALU_DEP_1)
	v_cvt_u32_f32_e32 v2, v2
	s_wait_alu 0xfffe
	v_mul_lo_u32 v3, s30, v2
	s_delay_alu instid0(VALU_DEP_1) | instskip(NEXT) | instid1(VALU_DEP_1)
	v_mul_hi_u32 v3, v2, v3
	v_add_nc_u32_e32 v2, v2, v3
	s_delay_alu instid0(VALU_DEP_1) | instskip(NEXT) | instid1(VALU_DEP_1)
	v_mul_hi_u32 v2, v6, v2
	v_mul_lo_u32 v3, v2, s28
	v_add_nc_u32_e32 v8, 1, v2
	s_delay_alu instid0(VALU_DEP_2) | instskip(NEXT) | instid1(VALU_DEP_1)
	v_sub_nc_u32_e32 v3, v6, v3
	v_subrev_nc_u32_e32 v9, s28, v3
	v_cmp_le_u32_e32 vcc_lo, s28, v3
	s_wait_alu 0xfffd
	s_delay_alu instid0(VALU_DEP_2) | instskip(NEXT) | instid1(VALU_DEP_1)
	v_dual_cndmask_b32 v3, v3, v9 :: v_dual_cndmask_b32 v2, v2, v8
	v_cmp_le_u32_e32 vcc_lo, s28, v3
	s_delay_alu instid0(VALU_DEP_2) | instskip(SKIP_1) | instid1(VALU_DEP_1)
	v_add_nc_u32_e32 v8, 1, v2
	s_wait_alu 0xfffd
	v_cndmask_b32_e32 v140, v2, v8, vcc_lo
.LBB0_6:                                ;   in Loop: Header=BB0_2 Depth=1
	s_wait_alu 0xfffe
	s_or_b32 exec_lo, exec_lo, s2
	v_mul_lo_u32 v8, v141, s28
	s_delay_alu instid0(VALU_DEP_2)
	v_mul_lo_u32 v9, v140, s29
	s_load_b64 s[30:31], s[22:23], 0x0
	v_mad_co_u64_u32 v[2:3], null, v140, s28, 0
	s_load_b64 s[28:29], s[20:21], 0x0
	s_add_nc_u64 s[24:25], s[24:25], 1
	s_add_nc_u64 s[20:21], s[20:21], 8
	s_wait_alu 0xfffe
	v_cmp_ge_u64_e64 s2, s[24:25], s[10:11]
	s_add_nc_u64 s[22:23], s[22:23], 8
	s_add_nc_u64 s[26:27], s[26:27], 8
	v_add3_u32 v3, v3, v9, v8
	v_sub_co_u32 v2, vcc_lo, v6, v2
	s_wait_alu 0xfffd
	s_delay_alu instid0(VALU_DEP_2) | instskip(SKIP_2) | instid1(VALU_DEP_1)
	v_sub_co_ci_u32_e32 v3, vcc_lo, v7, v3, vcc_lo
	s_and_b32 vcc_lo, exec_lo, s2
	s_wait_kmcnt 0x0
	v_mul_lo_u32 v6, s30, v3
	v_mul_lo_u32 v7, s31, v2
	v_mad_co_u64_u32 v[4:5], null, s30, v2, v[4:5]
	v_mul_lo_u32 v3, s28, v3
	v_mul_lo_u32 v8, s29, v2
	v_mad_co_u64_u32 v[188:189], null, s28, v2, v[188:189]
	s_delay_alu instid0(VALU_DEP_4) | instskip(NEXT) | instid1(VALU_DEP_2)
	v_add3_u32 v5, v7, v5, v6
	v_add3_u32 v189, v8, v189, v3
	s_wait_alu 0xfffe
	s_cbranch_vccnz .LBB0_9
; %bb.7:                                ;   in Loop: Header=BB0_2 Depth=1
	v_dual_mov_b32 v6, v140 :: v_dual_mov_b32 v7, v141
	s_branch .LBB0_2
.LBB0_8:
	v_dual_mov_b32 v189, v5 :: v_dual_mov_b32 v188, v4
	s_delay_alu instid0(VALU_DEP_2)
	v_dual_mov_b32 v141, v7 :: v_dual_mov_b32 v140, v6
.LBB0_9:
	s_load_b64 s[0:1], s[0:1], 0x28
	v_mul_hi_u32 v1, 0x25ed098, v0
	s_lshl_b64 s[2:3], s[10:11], 3
                                        ; implicit-def: $vgpr208
                                        ; implicit-def: $vgpr202
                                        ; implicit-def: $vgpr203
                                        ; implicit-def: $vgpr204
                                        ; implicit-def: $vgpr180
                                        ; implicit-def: $vgpr120
                                        ; implicit-def: $vgpr121
                                        ; implicit-def: $vgpr122
                                        ; implicit-def: $vgpr123
                                        ; implicit-def: $vgpr148
	s_wait_kmcnt 0x0
	v_cmp_gt_u64_e32 vcc_lo, s[0:1], v[140:141]
	v_cmp_le_u64_e64 s0, s[0:1], v[140:141]
	s_delay_alu instid0(VALU_DEP_1)
	s_and_saveexec_b32 s1, s0
	s_wait_alu 0xfffe
	s_xor_b32 s0, exec_lo, s1
; %bb.10:
	v_mul_u32_u24_e32 v1, 0x6c, v1
                                        ; implicit-def: $vgpr4_vgpr5
	s_delay_alu instid0(VALU_DEP_1) | instskip(NEXT) | instid1(VALU_DEP_1)
	v_sub_nc_u32_e32 v208, v0, v1
                                        ; implicit-def: $vgpr1
                                        ; implicit-def: $vgpr0
	v_add_nc_u32_e32 v202, 0x6c, v208
	v_add_nc_u32_e32 v203, 0xd8, v208
	;; [unrolled: 1-line block ×9, first 2 shown]
; %bb.11:
	s_wait_alu 0xfffe
	s_or_saveexec_b32 s1, s0
	s_add_nc_u64 s[10:11], s[14:15], s[2:3]
                                        ; implicit-def: $vgpr22_vgpr23
                                        ; implicit-def: $vgpr18_vgpr19
                                        ; implicit-def: $vgpr26_vgpr27
                                        ; implicit-def: $vgpr34_vgpr35
                                        ; implicit-def: $vgpr38_vgpr39
                                        ; implicit-def: $vgpr30_vgpr31
                                        ; implicit-def: $vgpr46_vgpr47
                                        ; implicit-def: $vgpr42_vgpr43
                                        ; implicit-def: $vgpr50_vgpr51
                                        ; implicit-def: $vgpr58_vgpr59
                                        ; implicit-def: $vgpr54_vgpr55
                                        ; implicit-def: $vgpr62_vgpr63
                                        ; implicit-def: $vgpr70_vgpr71
                                        ; implicit-def: $vgpr66_vgpr67
                                        ; implicit-def: $vgpr74_vgpr75
                                        ; implicit-def: $vgpr82_vgpr83
                                        ; implicit-def: $vgpr78_vgpr79
                                        ; implicit-def: $vgpr86_vgpr87
                                        ; implicit-def: $vgpr98_vgpr99
                                        ; implicit-def: $vgpr94_vgpr95
                                        ; implicit-def: $vgpr102_vgpr103
                                        ; implicit-def: $vgpr110_vgpr111
                                        ; implicit-def: $vgpr106_vgpr107
                                        ; implicit-def: $vgpr90_vgpr91
                                        ; implicit-def: $vgpr114_vgpr115
                                        ; implicit-def: $vgpr118_vgpr119
                                        ; implicit-def: $vgpr2_vgpr3
                                        ; implicit-def: $vgpr10_vgpr11
                                        ; implicit-def: $vgpr14_vgpr15
                                        ; implicit-def: $vgpr6_vgpr7
	s_wait_alu 0xfffe
	s_xor_b32 exec_lo, exec_lo, s1
	s_cbranch_execz .LBB0_13
; %bb.12:
	s_add_nc_u64 s[2:3], s[12:13], s[2:3]
	v_mul_u32_u24_e32 v1, 0x6c, v1
	s_load_b64 s[2:3], s[2:3], 0x0
	s_delay_alu instid0(VALU_DEP_1) | instskip(SKIP_1) | instid1(VALU_DEP_2)
	v_sub_nc_u32_e32 v208, v0, v1
	v_lshlrev_b64_e32 v[0:1], 4, v[4:5]
	v_add_nc_u32_e32 v18, 0x4a4, v208
	v_add_nc_u32_e32 v14, 0x438, v208
	v_mad_co_u64_u32 v[2:3], null, s18, v208, 0
	v_add_nc_u32_e32 v203, 0xd8, v208
	s_delay_alu instid0(VALU_DEP_4) | instskip(SKIP_2) | instid1(VALU_DEP_4)
	v_mad_co_u64_u32 v[16:17], null, s18, v18, 0
	v_add_nc_u32_e32 v15, 0x870, v208
	v_mad_co_u64_u32 v[4:5], null, s18, v14, 0
	v_mad_co_u64_u32 v[22:23], null, s18, v203, 0
	s_delay_alu instid0(VALU_DEP_3)
	v_mad_co_u64_u32 v[6:7], null, s18, v15, 0
	s_wait_kmcnt 0x0
	v_mul_lo_u32 v19, s3, v140
	v_mul_lo_u32 v20, s2, v141
	v_mad_co_u64_u32 v[8:9], null, s2, v140, 0
	v_add_nc_u32_e32 v202, 0x6c, v208
	v_mad_co_u64_u32 v[12:13], null, s19, v208, v[3:4]
	v_mov_b32_e32 v3, v5
	v_mov_b32_e32 v5, v7
	s_delay_alu instid0(VALU_DEP_4) | instskip(SKIP_1) | instid1(VALU_DEP_4)
	v_mad_co_u64_u32 v[10:11], null, s18, v202, 0
	v_add3_u32 v9, v9, v20, v19
	v_mad_co_u64_u32 v[13:14], null, s19, v14, v[3:4]
	v_mov_b32_e32 v3, v12
	v_add_nc_u32_e32 v121, 0x288, v208
	s_delay_alu instid0(VALU_DEP_4) | instskip(SKIP_3) | instid1(VALU_DEP_3)
	v_lshlrev_b64_e32 v[8:9], 4, v[8:9]
	v_mov_b32_e32 v7, v11
	v_mad_co_u64_u32 v[11:12], null, s19, v15, v[5:6]
	v_dual_mov_b32 v5, v13 :: v_dual_add_nc_u32 v30, 0x510, v208
	v_mad_co_u64_u32 v[14:15], null, s19, v202, v[7:8]
	v_add_co_u32 v7, s0, s4, v8
	s_wait_alu 0xf1ff
	v_add_co_ci_u32_e64 v8, s0, s5, v9, s0
	v_add_nc_u32_e32 v12, 0x8dc, v208
	s_delay_alu instid0(VALU_DEP_3)
	v_add_co_u32 v26, s0, v7, v0
	v_mov_b32_e32 v7, v11
	s_wait_alu 0xf1ff
	v_add_co_ci_u32_e64 v27, s0, v8, v1, s0
	v_lshlrev_b64_e32 v[0:1], 4, v[4:5]
	v_mov_b32_e32 v11, v14
	v_lshlrev_b64_e32 v[5:6], 4, v[6:7]
	v_mov_b32_e32 v4, v17
	v_lshlrev_b64_e32 v[2:3], 4, v[2:3]
	v_add_nc_u32_e32 v123, 0x360, v208
	v_lshlrev_b64_e32 v[7:8], 4, v[10:11]
	v_add_nc_u32_e32 v32, 0x948, v208
	v_mad_co_u64_u32 v[9:10], null, s19, v18, v[4:5]
	v_mad_co_u64_u32 v[18:19], null, s18, v12, 0
	v_add_co_u32 v2, s0, v26, v2
	s_wait_alu 0xf1ff
	v_add_co_ci_u32_e64 v3, s0, v27, v3, s0
	v_add_co_u32 v0, s0, v26, v0
	s_delay_alu instid0(VALU_DEP_4)
	v_mov_b32_e32 v4, v19
	s_wait_alu 0xf1ff
	v_add_co_ci_u32_e64 v1, s0, v27, v1, s0
	v_add_co_u32 v10, s0, v26, v5
	s_wait_alu 0xf1ff
	v_add_co_ci_u32_e64 v11, s0, v27, v6, s0
	v_add_co_u32 v20, s0, v26, v7
	v_mad_co_u64_u32 v[24:25], null, s19, v12, v[4:5]
	s_wait_alu 0xf1ff
	v_add_co_ci_u32_e64 v21, s0, v27, v8, s0
	v_mov_b32_e32 v17, v9
	s_clause 0x3
	global_load_b128 v[4:7], v[2:3], off
	global_load_b128 v[12:15], v[0:1], off
	;; [unrolled: 1-line block ×4, first 2 shown]
	v_mov_b32_e32 v20, v23
	v_mad_co_u64_u32 v[28:29], null, s18, v32, 0
	v_dual_mov_b32 v19, v24 :: v_dual_add_nc_u32 v204, 0x144, v208
	v_mad_co_u64_u32 v[24:25], null, s18, v30, 0
	s_delay_alu instid0(VALU_DEP_4)
	v_mad_co_u64_u32 v[20:21], null, s19, v203, v[20:21]
	v_add_nc_u32_e32 v36, 0x57c, v208
	v_add_nc_u32_e32 v38, 0x9b4, v208
	v_lshlrev_b64_e32 v[16:17], 4, v[16:17]
	v_lshlrev_b64_e32 v[18:19], 4, v[18:19]
	v_dual_mov_b32 v21, v25 :: v_dual_add_nc_u32 v180, 0x1b0, v208
	v_mov_b32_e32 v23, v20
	v_mad_co_u64_u32 v[34:35], null, s18, v38, 0
	s_delay_alu instid0(VALU_DEP_3) | instskip(NEXT) | instid1(VALU_DEP_3)
	v_mad_co_u64_u32 v[20:21], null, s19, v30, v[21:22]
	v_lshlrev_b64_e32 v[21:22], 4, v[22:23]
	v_mov_b32_e32 v23, v29
	v_add_co_u32 v16, s0, v26, v16
	v_mad_co_u64_u32 v[30:31], null, s18, v204, 0
	s_delay_alu instid0(VALU_DEP_3)
	v_mad_co_u64_u32 v[32:33], null, s19, v32, v[23:24]
	s_wait_alu 0xf1ff
	v_add_co_ci_u32_e64 v17, s0, v27, v17, s0
	v_add_co_u32 v18, s0, v26, v18
	v_mov_b32_e32 v25, v20
	s_wait_alu 0xf1ff
	v_add_co_ci_u32_e64 v19, s0, v27, v19, s0
	v_add_co_u32 v20, s0, v26, v21
	v_dual_mov_b32 v29, v32 :: v_dual_add_nc_u32 v42, 0x5e8, v208
	v_mad_co_u64_u32 v[32:33], null, s18, v36, 0
	s_wait_alu 0xf1ff
	v_add_co_ci_u32_e64 v21, s0, v27, v22, s0
	v_lshlrev_b64_e32 v[22:23], 4, v[24:25]
	v_mov_b32_e32 v24, v31
	v_add_nc_u32_e32 v44, 0xa20, v208
	v_lshlrev_b64_e32 v[28:29], 4, v[28:29]
	v_add_nc_u32_e32 v120, 0x21c, v208
	v_add_nc_u32_e32 v48, 0x654, v208
	v_mad_co_u64_u32 v[24:25], null, s19, v204, v[24:25]
	v_mov_b32_e32 v25, v33
	v_add_co_u32 v22, s0, v26, v22
	s_wait_alu 0xf1ff
	v_add_co_ci_u32_e64 v23, s0, v27, v23, s0
	s_delay_alu instid0(VALU_DEP_3) | instskip(SKIP_4) | instid1(VALU_DEP_3)
	v_mad_co_u64_u32 v[36:37], null, s19, v36, v[25:26]
	v_mov_b32_e32 v31, v24
	v_add_co_u32 v24, s0, v26, v28
	s_wait_alu 0xf1ff
	v_add_co_ci_u32_e64 v25, s0, v27, v29, s0
	v_lshlrev_b64_e32 v[28:29], 4, v[30:31]
	v_mov_b32_e32 v33, v36
	v_mad_co_u64_u32 v[36:37], null, s18, v180, 0
	v_mov_b32_e32 v30, v35
	v_add_nc_u32_e32 v50, 0xa8c, v208
	v_add_co_u32 v28, s0, v26, v28
	s_wait_alu 0xf1ff
	v_add_co_ci_u32_e64 v29, s0, v27, v29, s0
	v_mad_co_u64_u32 v[30:31], null, s19, v38, v[30:31]
	v_lshlrev_b64_e32 v[31:32], 4, v[32:33]
	v_mov_b32_e32 v33, v37
	v_mad_co_u64_u32 v[38:39], null, s18, v42, 0
	v_mad_co_u64_u32 v[46:47], null, s18, v50, 0
	s_delay_alu instid0(VALU_DEP_3) | instskip(SKIP_4) | instid1(VALU_DEP_3)
	v_mad_co_u64_u32 v[40:41], null, s19, v180, v[33:34]
	v_mov_b32_e32 v35, v30
	v_add_co_u32 v30, s0, v26, v31
	s_wait_alu 0xf1ff
	v_add_co_ci_u32_e64 v31, s0, v27, v32, s0
	v_lshlrev_b64_e32 v[32:33], 4, v[34:35]
	v_mov_b32_e32 v37, v40
	v_mad_co_u64_u32 v[40:41], null, s18, v44, 0
	v_mov_b32_e32 v34, v39
	v_add_nc_u32_e32 v54, 0x6c0, v208
	v_add_co_u32 v32, s0, v26, v32
	s_wait_alu 0xf1ff
	v_add_co_ci_u32_e64 v33, s0, v27, v33, s0
	v_mad_co_u64_u32 v[34:35], null, s19, v42, v[34:35]
	v_lshlrev_b64_e32 v[35:36], 4, v[36:37]
	v_mov_b32_e32 v37, v41
	v_mad_co_u64_u32 v[42:43], null, s18, v120, 0
	v_add_nc_u32_e32 v56, 0xaf8, v208
	v_add_nc_u32_e32 v122, 0x2f4, v208
	s_delay_alu instid0(VALU_DEP_4) | instskip(SKIP_4) | instid1(VALU_DEP_3)
	v_mad_co_u64_u32 v[44:45], null, s19, v44, v[37:38]
	v_mov_b32_e32 v39, v34
	v_add_co_u32 v34, s0, v26, v35
	s_wait_alu 0xf1ff
	v_add_co_ci_u32_e64 v35, s0, v27, v36, s0
	v_lshlrev_b64_e32 v[36:37], 4, v[38:39]
	v_mov_b32_e32 v41, v44
	v_mad_co_u64_u32 v[44:45], null, s18, v48, 0
	v_mov_b32_e32 v38, v43
	v_add_nc_u32_e32 v60, 0x72c, v208
	v_add_co_u32 v36, s0, v26, v36
	s_wait_alu 0xf1ff
	v_add_co_ci_u32_e64 v37, s0, v27, v37, s0
	v_mad_co_u64_u32 v[38:39], null, s19, v120, v[38:39]
	v_lshlrev_b64_e32 v[39:40], 4, v[40:41]
	v_dual_mov_b32 v41, v45 :: v_dual_add_nc_u32 v62, 0xb64, v208
	v_add_nc_u32_e32 v64, 0x798, v208
	v_add_nc_u32_e32 v148, 0x3cc, v208
	;; [unrolled: 1-line block ×3, first 2 shown]
	s_delay_alu instid0(VALU_DEP_4) | instskip(SKIP_4) | instid1(VALU_DEP_3)
	v_mad_co_u64_u32 v[48:49], null, s19, v48, v[41:42]
	v_mov_b32_e32 v43, v38
	v_add_co_u32 v38, s0, v26, v39
	s_wait_alu 0xf1ff
	v_add_co_ci_u32_e64 v39, s0, v27, v40, s0
	v_lshlrev_b64_e32 v[40:41], 4, v[42:43]
	v_mov_b32_e32 v45, v48
	v_mad_co_u64_u32 v[48:49], null, s18, v121, 0
	v_mov_b32_e32 v42, v47
	v_mad_co_u64_u32 v[58:59], null, s18, v62, 0
	v_add_co_u32 v40, s0, v26, v40
	s_delay_alu instid0(VALU_DEP_3)
	v_mad_co_u64_u32 v[42:43], null, s19, v50, v[42:43]
	v_lshlrev_b64_e32 v[43:44], 4, v[44:45]
	v_mov_b32_e32 v45, v49
	v_mad_co_u64_u32 v[50:51], null, s18, v54, 0
	s_wait_alu 0xf1ff
	v_add_co_ci_u32_e64 v41, s0, v27, v41, s0
	s_delay_alu instid0(VALU_DEP_3) | instskip(SKIP_4) | instid1(VALU_DEP_3)
	v_mad_co_u64_u32 v[52:53], null, s19, v121, v[45:46]
	v_mov_b32_e32 v47, v42
	v_add_co_u32 v42, s0, v26, v43
	s_wait_alu 0xf1ff
	v_add_co_ci_u32_e64 v43, s0, v27, v44, s0
	v_lshlrev_b64_e32 v[44:45], 4, v[46:47]
	v_mov_b32_e32 v49, v52
	v_mad_co_u64_u32 v[52:53], null, s18, v56, 0
	v_mov_b32_e32 v46, v51
	v_add_nc_u32_e32 v66, 0xc3c, v208
	v_add_co_u32 v44, s0, v26, v44
	s_wait_alu 0xf1ff
	v_add_co_ci_u32_e64 v45, s0, v27, v45, s0
	v_mad_co_u64_u32 v[46:47], null, s19, v54, v[46:47]
	v_lshlrev_b64_e32 v[47:48], 4, v[48:49]
	v_mov_b32_e32 v49, v53
	v_mad_co_u64_u32 v[54:55], null, s18, v122, 0
	s_clause 0x3
	global_load_b128 v[116:119], v[16:17], off
	global_load_b128 v[112:115], v[18:19], off
	;; [unrolled: 1-line block ×4, first 2 shown]
	v_mad_co_u64_u32 v[56:57], null, s19, v56, v[49:50]
	v_mov_b32_e32 v51, v46
	v_add_co_u32 v46, s0, v26, v47
	s_wait_alu 0xf1ff
	v_add_co_ci_u32_e64 v47, s0, v27, v48, s0
	s_delay_alu instid0(VALU_DEP_3) | instskip(SKIP_2) | instid1(VALU_DEP_2)
	v_lshlrev_b64_e32 v[48:49], 4, v[50:51]
	v_dual_mov_b32 v50, v55 :: v_dual_mov_b32 v53, v56
	v_mad_co_u64_u32 v[56:57], null, s18, v60, 0
	v_mad_co_u64_u32 v[50:51], null, s19, v122, v[50:51]
	s_delay_alu instid0(VALU_DEP_3) | instskip(SKIP_1) | instid1(VALU_DEP_4)
	v_lshlrev_b64_e32 v[51:52], 4, v[52:53]
	v_add_co_u32 v48, s0, v26, v48
	v_mov_b32_e32 v53, v57
	s_wait_alu 0xf1ff
	v_add_co_ci_u32_e64 v49, s0, v27, v49, s0
	v_mov_b32_e32 v55, v50
	v_add_co_u32 v50, s0, v26, v51
	v_mad_co_u64_u32 v[60:61], null, s19, v60, v[53:54]
	s_wait_alu 0xf1ff
	v_add_co_ci_u32_e64 v51, s0, v27, v52, s0
	v_lshlrev_b64_e32 v[52:53], 4, v[54:55]
	s_delay_alu instid0(VALU_DEP_3) | instskip(SKIP_1) | instid1(VALU_DEP_3)
	v_dual_mov_b32 v54, v59 :: v_dual_mov_b32 v57, v60
	v_mad_co_u64_u32 v[60:61], null, s18, v123, 0
	v_add_co_u32 v124, s0, v26, v52
	s_delay_alu instid0(VALU_DEP_3)
	v_mad_co_u64_u32 v[54:55], null, s19, v62, v[54:55]
	s_wait_alu 0xf1ff
	v_add_co_ci_u32_e64 v125, s0, v27, v53, s0
	v_lshlrev_b64_e32 v[52:53], 4, v[56:57]
	v_mad_co_u64_u32 v[56:57], null, s18, v64, 0
	v_mov_b32_e32 v55, v61
	v_mov_b32_e32 v59, v54
	v_mad_co_u64_u32 v[62:63], null, s18, v65, 0
	v_add_co_u32 v126, s0, v26, v52
	s_delay_alu instid0(VALU_DEP_4)
	v_mad_co_u64_u32 v[54:55], null, s19, v123, v[55:56]
	v_mov_b32_e32 v52, v57
	v_lshlrev_b64_e32 v[57:58], 4, v[58:59]
	s_wait_alu 0xf1ff
	v_add_co_ci_u32_e64 v127, s0, v27, v53, s0
	v_mov_b32_e32 v55, v63
	v_mad_co_u64_u32 v[52:53], null, s19, v64, v[52:53]
	v_mov_b32_e32 v61, v54
	v_add_co_u32 v128, s0, v26, v57
	s_wait_alu 0xf1ff
	v_add_co_ci_u32_e64 v129, s0, v27, v58, s0
	s_delay_alu instid0(VALU_DEP_3) | instskip(SKIP_3) | instid1(VALU_DEP_3)
	v_lshlrev_b64_e32 v[53:54], 4, v[60:61]
	v_add_nc_u32_e32 v61, 0x804, v208
	v_mad_co_u64_u32 v[58:59], null, s19, v65, v[55:56]
	v_mad_co_u64_u32 v[59:60], null, s18, v148, 0
	;; [unrolled: 1-line block ×3, first 2 shown]
	v_add_co_u32 v130, s0, v26, v53
	v_mov_b32_e32 v57, v52
	s_wait_alu 0xf1ff
	v_add_co_ci_u32_e64 v131, s0, v27, v54, s0
	s_delay_alu instid0(VALU_DEP_4) | instskip(NEXT) | instid1(VALU_DEP_3)
	v_dual_mov_b32 v54, v60 :: v_dual_mov_b32 v55, v65
	v_lshlrev_b64_e32 v[52:53], 4, v[56:57]
	v_mov_b32_e32 v63, v58
	s_delay_alu instid0(VALU_DEP_3) | instskip(SKIP_1) | instid1(VALU_DEP_4)
	v_mad_co_u64_u32 v[56:57], null, s19, v148, v[54:55]
	v_mad_co_u64_u32 v[57:58], null, s18, v66, 0
	v_add_co_u32 v132, s0, v26, v52
	s_wait_alu 0xf1ff
	v_add_co_ci_u32_e64 v133, s0, v27, v53, s0
	s_delay_alu instid0(VALU_DEP_4) | instskip(SKIP_3) | instid1(VALU_DEP_2)
	v_mov_b32_e32 v60, v56
	v_mad_co_u64_u32 v[54:55], null, s19, v61, v[55:56]
	v_mov_b32_e32 v55, v58
	v_lshlrev_b64_e32 v[52:53], 4, v[62:63]
	v_mad_co_u64_u32 v[16:17], null, s19, v66, v[55:56]
	s_delay_alu instid0(VALU_DEP_2) | instskip(SKIP_2) | instid1(VALU_DEP_4)
	v_add_co_u32 v17, s0, v26, v52
	v_mov_b32_e32 v65, v54
	s_wait_alu 0xf1ff
	v_add_co_ci_u32_e64 v18, s0, v27, v53, s0
	v_lshlrev_b64_e32 v[52:53], 4, v[59:60]
	v_mov_b32_e32 v58, v16
	v_lshlrev_b64_e32 v[19:20], 4, v[64:65]
	s_delay_alu instid0(VALU_DEP_3) | instskip(SKIP_1) | instid1(VALU_DEP_4)
	v_add_co_u32 v21, s0, v26, v52
	s_wait_alu 0xf1ff
	v_add_co_ci_u32_e64 v22, s0, v27, v53, s0
	v_lshlrev_b64_e32 v[52:53], 4, v[57:58]
	s_delay_alu instid0(VALU_DEP_4) | instskip(SKIP_2) | instid1(VALU_DEP_3)
	v_add_co_u32 v19, s0, v26, v19
	s_wait_alu 0xf1ff
	v_add_co_ci_u32_e64 v20, s0, v27, v20, s0
	v_add_co_u32 v134, s0, v26, v52
	s_wait_alu 0xf1ff
	v_add_co_ci_u32_e64 v135, s0, v27, v53, s0
	s_clause 0x15
	global_load_b128 v[108:111], v[24:25], off
	global_load_b128 v[100:103], v[28:29], off
	;; [unrolled: 1-line block ×22, first 2 shown]
.LBB0_13:
	s_or_b32 exec_lo, exec_lo, s1
	s_wait_loadcnt 0x1c
	v_add_f64_e32 v[126:127], v[14:15], v[6:7]
	s_wait_loadcnt 0x19
	v_add_f64_e32 v[132:133], v[116:117], v[0:1]
	v_add_f64_e32 v[134:135], v[118:119], v[2:3]
	s_wait_loadcnt 0x18
	v_add_f64_e32 v[138:139], v[114:115], v[118:119]
	v_add_f64_e32 v[124:125], v[12:13], v[4:5]
	v_add_f64_e32 v[128:129], v[8:9], v[12:13]
	v_add_f64_e32 v[130:131], v[10:11], v[14:15]
	s_wait_loadcnt 0x15
	v_add_f64_e32 v[146:147], v[108:109], v[104:105]
	v_add_f64_e32 v[136:137], v[112:113], v[116:117]
	;; [unrolled: 1-line block ×3, first 2 shown]
	s_wait_loadcnt 0x12
	v_add_f64_e32 v[153:154], v[96:97], v[92:93]
	s_wait_loadcnt 0xf
	v_add_f64_e32 v[161:162], v[80:81], v[76:77]
	;; [unrolled: 2-line block ×5, first 2 shown]
	v_add_f64_e32 v[144:145], v[106:107], v[90:91]
	v_add_f64_e32 v[151:152], v[92:93], v[100:101]
	v_add_f64_e64 v[14:15], v[14:15], -v[10:11]
	v_add_f64_e32 v[159:160], v[76:77], v[84:85]
	v_add_f64_e64 v[118:119], v[118:119], -v[114:115]
	v_add_f64_e64 v[116:117], v[116:117], -v[112:113]
	v_add_f64_e32 v[167:168], v[64:65], v[72:73]
	v_add_f64_e64 v[12:13], v[12:13], -v[8:9]
	v_add_f64_e32 v[149:150], v[110:111], v[106:107]
	v_add_f64_e64 v[106:107], v[106:107], -v[110:111]
	v_add_f64_e32 v[155:156], v[94:95], v[102:103]
	v_add_f64_e32 v[157:158], v[98:99], v[94:95]
	v_add_f64_e32 v[163:164], v[78:79], v[86:87]
	;; [unrolled: 1-line block ×5, first 2 shown]
	v_add_f64_e64 v[104:105], v[104:105], -v[108:109]
	v_add_f64_e64 v[94:95], v[94:95], -v[98:99]
	;; [unrolled: 1-line block ×7, first 2 shown]
	v_add_f64_e32 v[184:185], v[10:11], v[126:127]
	v_add_f64_e32 v[10:11], v[112:113], v[132:133]
	;; [unrolled: 1-line block ×3, first 2 shown]
	v_fma_f64 v[114:115], v[138:139], -0.5, v[2:3]
	s_wait_loadcnt 0x3
	v_add_f64_e32 v[2:3], v[32:33], v[36:37]
	v_add_f64_e32 v[8:9], v[8:9], v[124:125]
	s_wait_loadcnt 0x0
	v_add_f64_e32 v[124:125], v[20:21], v[16:17]
	v_fma_f64 v[4:5], v[128:129], -0.5, v[4:5]
	v_fma_f64 v[6:7], v[130:131], -0.5, v[6:7]
	v_add_f64_e32 v[126:127], v[52:53], v[60:61]
	v_add_f64_e32 v[128:129], v[54:55], v[62:63]
	;; [unrolled: 1-line block ×3, first 2 shown]
	v_fma_f64 v[88:89], v[146:147], -0.5, v[88:89]
	v_fma_f64 v[0:1], v[136:137], -0.5, v[0:1]
	v_add_f64_e32 v[108:109], v[108:109], v[142:143]
	v_fma_f64 v[100:101], v[153:154], -0.5, v[100:101]
	v_fma_f64 v[84:85], v[161:162], -0.5, v[84:85]
	v_add_f64_e32 v[134:135], v[40:41], v[48:49]
	v_add_f64_e32 v[136:137], v[42:43], v[50:51]
	;; [unrolled: 1-line block ×3, first 2 shown]
	v_fma_f64 v[72:73], v[169:170], -0.5, v[72:73]
	v_fma_f64 v[60:61], v[175:176], -0.5, v[60:61]
	v_add_f64_e64 v[54:55], v[54:55], -v[58:59]
	v_fma_f64 v[48:49], v[177:178], -0.5, v[48:49]
	v_add_f64_e32 v[142:143], v[38:39], v[30:31]
	v_add_f64_e64 v[42:43], v[42:43], -v[46:47]
	v_add_f64_e32 v[110:111], v[110:111], v[144:145]
	v_add_f64_e32 v[132:133], v[96:97], v[151:152]
	;; [unrolled: 1-line block ×5, first 2 shown]
	v_add_f64_e64 v[144:145], v[38:39], -v[34:35]
	s_mov_b32 s2, 0xe8584caa
	v_add_f64_e32 v[38:39], v[34:35], v[38:39]
	s_mov_b32 s3, 0x3febb67a
	s_mov_b32 s5, 0xbfebb67a
	s_wait_alu 0xfffe
	s_mov_b32 s4, s2
	v_add_f64_e64 v[52:53], v[52:53], -v[56:57]
	v_add_f64_e64 v[40:41], v[40:41], -v[44:45]
	v_fma_f64 v[90:91], v[149:150], -0.5, v[90:91]
	v_fma_f64 v[86:87], v[165:166], -0.5, v[86:87]
	;; [unrolled: 1-line block ×6, first 2 shown]
	v_add_f64_e64 v[124:125], v[18:19], -v[22:23]
	v_add_f64_e32 v[24:25], v[16:17], v[24:25]
	v_add_f64_e32 v[126:127], v[56:57], v[126:127]
	;; [unrolled: 1-line block ×3, first 2 shown]
	v_fma_f64 v[62:63], v[130:131], -0.5, v[62:63]
	v_add_f64_e32 v[56:57], v[22:23], v[18:19]
	v_fma_f64 v[128:129], v[14:15], s[2:3], v[4:5]
	v_fma_f64 v[130:131], v[106:107], s[2:3], v[88:89]
	s_wait_alu 0xfffe
	v_fma_f64 v[4:5], v[14:15], s[4:5], v[4:5]
	v_fma_f64 v[88:89], v[106:107], s[4:5], v[88:89]
	;; [unrolled: 1-line block ×4, first 2 shown]
	v_add_f64_e32 v[118:119], v[44:45], v[134:135]
	v_fma_f64 v[106:107], v[94:95], s[2:3], v[100:101]
	v_fma_f64 v[44:45], v[78:79], s[2:3], v[84:85]
	;; [unrolled: 1-line block ×5, first 2 shown]
	v_add_f64_e64 v[72:73], v[36:37], -v[32:33]
	v_fma_f64 v[36:37], v[54:55], s[2:3], v[60:61]
	v_fma_f64 v[54:55], v[54:55], s[4:5], v[60:61]
	v_add_f64_e32 v[60:61], v[34:35], v[142:143]
	v_fma_f64 v[34:35], v[42:43], s[2:3], v[48:49]
	v_fma_f64 v[94:95], v[94:95], s[4:5], v[100:101]
	v_fma_f64 v[42:43], v[42:43], s[4:5], v[48:49]
	v_add_f64_e32 v[32:33], v[32:33], v[68:69]
	v_fma_f64 v[50:51], v[138:139], -0.5, v[50:51]
	v_add_f64_e32 v[98:99], v[98:99], v[155:156]
	v_mad_u32_u24 v154, v208, 24, 0
	v_mad_i32_i24 v156, v203, 24, 0
	v_mad_i32_i24 v155, v202, 24, 0
	v_fma_f64 v[100:101], v[12:13], s[4:5], v[6:7]
	v_fma_f64 v[152:153], v[12:13], s[2:3], v[6:7]
	v_fma_f64 v[6:7], v[38:39], -0.5, v[30:31]
	v_add_f64_e32 v[18:19], v[18:19], v[26:27]
	v_fma_f64 v[48:49], v[144:145], s[2:3], v[2:3]
	v_fma_f64 v[2:3], v[144:145], s[4:5], v[2:3]
	s_load_b64 s[10:11], s[10:11], 0x0
	v_fma_f64 v[68:69], v[124:125], s[2:3], v[28:29]
	v_add_f64_e32 v[24:25], v[20:21], v[24:25]
	v_fma_f64 v[28:29], v[124:125], s[4:5], v[28:29]
	v_add_f64_e64 v[16:17], v[16:17], -v[20:21]
	ds_store_2addr_b64 v154, v[8:9], v[128:129] offset1:1
	ds_store_b64 v154, v[4:5] offset:16
	ds_store_2addr_b64 v155, v[10:11], v[14:15] offset1:1
	ds_store_b64 v155, v[0:1] offset:16
	v_fma_f64 v[12:13], v[56:57], -0.5, v[26:27]
	v_mad_i32_i24 v209, v204, 24, 0
	ds_store_2addr_b64 v156, v[108:109], v[130:131] offset1:1
	ds_store_b64 v156, v[88:89] offset:16
	v_mad_i32_i24 v210, v180, 24, 0
	v_mad_i32_i24 v88, v121, 24, 0
	;; [unrolled: 1-line block ×4, first 2 shown]
	ds_store_2addr_b64 v209, v[132:133], v[106:107] offset1:1
	ds_store_b64 v209, v[94:95] offset:16
	ds_store_2addr_b64 v210, v[96:97], v[44:45] offset1:1
	ds_store_b64 v210, v[78:79] offset:16
	;; [unrolled: 2-line block ×5, first 2 shown]
	v_fma_f64 v[42:43], v[116:117], s[4:5], v[114:115]
	v_fma_f64 v[44:45], v[116:117], s[2:3], v[114:115]
	v_mad_i32_i24 v94, v123, 24, 0
	v_mad_i32_i24 v95, v148, 24, 0
	v_add_f64_e32 v[82:83], v[82:83], v[163:164]
	ds_store_2addr_b64 v94, v[32:33], v[48:49] offset1:1
	ds_store_b64 v94, v[2:3] offset:16
	ds_store_2addr_b64 v95, v[24:25], v[68:69] offset1:1
	ds_store_b64 v95, v[28:29] offset:16
	v_fma_f64 v[48:49], v[104:105], s[4:5], v[90:91]
	v_fma_f64 v[78:79], v[76:77], s[4:5], v[86:87]
	;; [unrolled: 1-line block ×8, first 2 shown]
	v_add_f64_e32 v[70:71], v[70:71], v[171:172]
	v_add_f64_e32 v[46:47], v[46:47], v[136:137]
	v_fma_f64 v[66:67], v[92:93], s[4:5], v[102:103]
	v_fma_f64 v[62:63], v[40:41], s[4:5], v[50:51]
	;; [unrolled: 1-line block ×4, first 2 shown]
	v_lshlrev_b32_e32 v4, 4, v121
	v_lshl_add_u32 v206, v208, 3, 0
	v_lshlrev_b32_e32 v217, 4, v180
	v_lshlrev_b32_e32 v5, 4, v123
	;; [unrolled: 1-line block ×5, first 2 shown]
	v_sub_nc_u32_e32 v146, v88, v4
	v_lshlrev_b32_e32 v4, 4, v122
	v_add_nc_u32_e32 v205, 0x2000, v206
	v_add_nc_u32_e32 v214, 0x2800, v206
	v_sub_nc_u32_e32 v182, v210, v217
	v_sub_nc_u32_e32 v150, v94, v5
	v_fma_f64 v[50:51], v[72:73], s[4:5], v[6:7]
	v_and_b32_e32 v187, 0xff, v202
	v_add_nc_u32_e32 v207, 0x4000, v206
	v_add_nc_u32_e32 v215, 0x4800, v206
	v_lshl_add_u32 v212, v202, 3, 0
	v_sub_nc_u32_e32 v183, v211, v218
	v_sub_nc_u32_e32 v147, v95, v8
	v_fma_f64 v[72:73], v[72:73], s[2:3], v[6:7]
	v_add_f64_e32 v[56:57], v[22:23], v[18:19]
	v_lshl_add_u32 v213, v203, 3, 0
	v_add_nc_u32_e32 v222, 0x2c00, v206
	v_fma_f64 v[84:85], v[16:17], s[4:5], v[12:13]
	v_sub_nc_u32_e32 v181, v209, v216
	v_add_nc_u32_e32 v219, 0x5000, v206
	v_sub_nc_u32_e32 v151, v89, v4
	v_fma_f64 v[86:87], v[16:17], s[2:3], v[12:13]
	v_and_b32_e32 v149, 0xff, v208
	v_add_nc_u32_e32 v220, 0x3400, v206
	global_wb scope:SCOPE_SE
	s_wait_dscnt 0x0
	s_wait_kmcnt 0x0
	s_barrier_signal -1
	s_barrier_wait -1
	global_inv scope:SCOPE_SE
	ds_load_2addr_b64 v[36:39], v205 offset0:56 offset1:164
	ds_load_2addr_b64 v[28:31], v207 offset0:112 offset1:220
	;; [unrolled: 1-line block ×4, first 2 shown]
	ds_load_b64 v[130:131], v206
	ds_load_b64 v[128:129], v212
	;; [unrolled: 1-line block ×4, first 2 shown]
	v_add_nc_u32_e32 v221, 0x5400, v206
	ds_load_b64 v[138:139], v182
	ds_load_b64 v[136:137], v183
	;; [unrolled: 1-line block ×4, first 2 shown]
	v_add_nc_u32_e32 v223, 0x3c00, v206
	v_add_nc_u32_e32 v224, 0x5c00, v206
	ds_load_b64 v[144:145], v150
	ds_load_b64 v[142:143], v147
	ds_load_2addr_b64 v[24:27], v222 offset0:104 offset1:212
	ds_load_2addr_b64 v[20:23], v219 offset0:32 offset1:140
	ds_load_2addr_b64 v[16:19], v220 offset0:64 offset1:172
	ds_load_2addr_b64 v[12:15], v221 offset0:120 offset1:228
	ds_load_2addr_b64 v[8:11], v223 offset0:24 offset1:132
	ds_load_2addr_b64 v[4:7], v224 offset0:80 offset1:188
	global_wb scope:SCOPE_SE
	s_wait_dscnt 0x0
	s_barrier_signal -1
	s_barrier_wait -1
	global_inv scope:SCOPE_SE
	ds_store_2addr_b64 v154, v[184:185], v[100:101] offset1:1
	ds_store_b64 v154, v[152:153] offset:16
	ds_store_2addr_b64 v155, v[112:113], v[42:43] offset1:1
	ds_store_b64 v155, v[44:45] offset:16
	v_mul_lo_u16 v43, 0xab, v187
	v_mul_lo_u16 v90, 0xab, v149
	ds_store_2addr_b64 v156, v[110:111], v[48:49] offset1:1
	ds_store_b64 v156, v[54:55] offset:16
	ds_store_2addr_b64 v209, v[98:99], v[66:67] offset1:1
	ds_store_b64 v209, v[68:69] offset:16
	ds_store_2addr_b64 v210, v[82:83], v[78:79] offset1:1
	ds_store_b64 v210, v[76:77] offset:16
	ds_store_2addr_b64 v211, v[70:71], v[80:81] offset1:1
	ds_store_b64 v211, v[64:65] offset:16
	ds_store_2addr_b64 v88, v[58:59], v[74:75] offset1:1
	ds_store_b64 v88, v[52:53] offset:16
	ds_store_2addr_b64 v89, v[46:47], v[62:63] offset1:1
	ds_store_b64 v89, v[40:41] offset:16
	v_lshrrev_b16 v157, 9, v43
	v_lshrrev_b16 v153, 9, v90
	v_and_b32_e32 v186, 0xffff, v203
	v_and_b32_e32 v185, 0xffff, v204
	ds_store_2addr_b64 v94, v[60:61], v[50:51] offset1:1
	ds_store_b64 v94, v[72:73] offset:16
	ds_store_2addr_b64 v95, v[56:57], v[84:85] offset1:1
	ds_store_b64 v95, v[86:87] offset:16
	v_mul_lo_u16 v40, v157, 3
	v_mul_lo_u16 v42, v153, 3
	global_wb scope:SCOPE_SE
	s_wait_dscnt 0x0
	s_barrier_signal -1
	s_barrier_wait -1
	v_sub_nc_u16 v40, v202, v40
	v_sub_nc_u16 v42, v208, v42
	global_inv scope:SCOPE_SE
	v_and_b32_e32 v184, 0xffff, v180
	v_and_b32_e32 v50, 0xffff, v121
	;; [unrolled: 1-line block ×3, first 2 shown]
	v_mul_u32_u24_e32 v40, 0xaaab, v186
	v_and_b32_e32 v152, 0xff, v42
	v_mul_u32_u24_e32 v42, 0xaaab, v185
	v_mul_u32_u24_e32 v53, 0xaaab, v50
	v_lshlrev_b32_e32 v43, 5, v156
	v_lshrrev_b32_e32 v161, 17, v40
	v_lshlrev_b32_e32 v41, 5, v152
	v_lshrrev_b32_e32 v160, 17, v42
	v_and_b32_e32 v51, 0xffff, v122
	s_clause 0x1
	global_load_b128 v[76:79], v43, s[8:9]
	global_load_b128 v[112:115], v43, s[8:9] offset:16
	v_mul_lo_u16 v40, v161, 3
	s_clause 0x1
	global_load_b128 v[92:95], v41, s[8:9]
	global_load_b128 v[108:111], v41, s[8:9] offset:16
	v_mul_lo_u16 v42, v160, 3
	v_lshrrev_b32_e32 v233, 17, v53
	v_sub_nc_u16 v40, v203, v40
	v_and_b32_e32 v53, 0xffff, v148
	v_mul_u32_u24_e32 v54, 0xaaab, v51
	v_sub_nc_u16 v41, v204, v42
	v_mul_u32_u24_e32 v42, 0xaaab, v184
	v_and_b32_e32 v159, 0xffff, v40
	v_and_b32_e32 v40, 0xffff, v120
	v_mul_u32_u24_e32 v62, 0xaaab, v53
	v_and_b32_e32 v162, 0xffff, v41
	v_lshrrev_b32_e32 v164, 17, v42
	v_lshlrev_b32_e32 v44, 5, v159
	v_mul_u32_u24_e32 v40, 0xaaab, v40
	v_lshrrev_b32_e32 v234, 17, v54
	v_lshlrev_b32_e32 v48, 5, v162
	v_mul_lo_u16 v45, v164, 3
	global_load_b128 v[116:119], v44, s[8:9]
	v_lshrrev_b32_e32 v163, 17, v40
	v_mul_lo_u16 v54, v233, 3
	global_load_b128 v[40:43], v48, s[8:9]
	v_sub_nc_u16 v49, v180, v45
	v_lshrrev_b32_e32 v155, 17, v62
	v_mul_lo_u16 v52, v163, 3
	v_mul_lo_u16 v56, v234, 3
	v_sub_nc_u16 v63, v121, v54
	v_and_b32_e32 v165, 0xffff, v49
	v_mul_lo_u16 v82, v155, 3
	v_sub_nc_u16 v52, v120, v52
	v_sub_nc_u16 v64, v122, v56
	s_clause 0x1
	global_load_b128 v[44:47], v44, s[8:9] offset:16
	global_load_b128 v[48:51], v48, s[8:9] offset:16
	v_lshlrev_b32_e32 v55, 5, v165
	v_and_b32_e32 v225, 0xffff, v52
	v_and_b32_e32 v52, 0xffff, v123
	;; [unrolled: 1-line block ×3, first 2 shown]
	v_sub_nc_u16 v89, v148, v82
	v_and_b32_e32 v236, 0xffff, v64
	v_lshlrev_b32_e32 v60, 5, v225
	v_mul_u32_u24_e32 v61, 0xaaab, v52
	s_clause 0x1
	global_load_b128 v[56:59], v55, s[8:9]
	global_load_b128 v[52:55], v55, s[8:9] offset:16
	v_lshlrev_b32_e32 v80, 5, v235
	v_and_b32_e32 v148, 0xffff, v89
	v_lshlrev_b32_e32 v84, 5, v236
	v_lshrrev_b32_e32 v154, 17, v61
	s_clause 0x3
	global_load_b128 v[64:67], v60, s[8:9]
	global_load_b128 v[60:63], v60, s[8:9] offset:16
	global_load_b128 v[68:71], v80, s[8:9]
	global_load_b128 v[72:75], v84, s[8:9]
	v_lshlrev_b32_e32 v104, 5, v148
	v_mul_lo_u16 v81, v154, 3
	v_mul_u32_u24_e32 v228, 0x48, v163
	v_lshlrev_b32_e32 v156, 3, v156
	v_lshlrev_b32_e32 v163, 3, v159
	v_mul_u32_u24_e32 v226, 0x48, v160
	v_sub_nc_u16 v88, v123, v81
	s_clause 0x1
	global_load_b128 v[80:83], v80, s[8:9] offset:16
	global_load_b128 v[84:87], v84, s[8:9] offset:16
	v_mul_u32_u24_e32 v227, 0x48, v164
	v_lshlrev_b32_e32 v229, 3, v162
	v_lshlrev_b32_e32 v230, 3, v165
	v_and_b32_e32 v158, 0xffff, v88
	v_lshlrev_b32_e32 v225, 3, v225
	s_mov_b32 s14, 0x134454ff
	s_mov_b32 s15, 0x3fee6f0e
	;; [unrolled: 1-line block ×3, first 2 shown]
	v_lshlrev_b32_e32 v100, 5, v158
	s_clause 0x3
	global_load_b128 v[88:91], v100, s[8:9]
	global_load_b128 v[96:99], v104, s[8:9]
	global_load_b128 v[100:103], v100, s[8:9] offset:16
	global_load_b128 v[104:107], v104, s[8:9] offset:16
	ds_load_2addr_b64 v[166:169], v205 offset0:56 offset1:164
	ds_load_2addr_b64 v[170:173], v207 offset0:112 offset1:220
	;; [unrolled: 1-line block ×4, first 2 shown]
	s_mov_b32 s0, s14
	s_mov_b32 s20, 0x4755a5e
	;; [unrolled: 1-line block ×9, first 2 shown]
	s_wait_loadcnt_dscnt 0x1303
	v_mul_f64_e32 v[192:193], v[168:169], v[78:79]
	v_mul_f64_e32 v[78:79], v[38:39], v[78:79]
	s_wait_loadcnt_dscnt 0x1202
	v_mul_f64_e32 v[196:197], v[172:173], v[114:115]
	s_wait_loadcnt 0x11
	v_mul_f64_e32 v[178:179], v[166:167], v[94:95]
	v_mul_f64_e32 v[190:191], v[36:37], v[94:95]
	s_wait_loadcnt 0x10
	v_mul_f64_e32 v[194:195], v[170:171], v[110:111]
	v_mul_f64_e32 v[110:111], v[28:29], v[110:111]
	;; [unrolled: 1-line block ×3, first 2 shown]
	v_and_b32_e32 v94, 0xffff, v153
	v_lshlrev_b32_e32 v114, 3, v152
	v_and_b32_e32 v95, 0xffff, v157
	v_mul_u32_u24_e32 v157, 0x48, v161
	ds_load_2addr_b64 v[159:162], v222 offset0:104 offset1:212
	v_mul_u32_u24_e32 v94, 0x48, v94
	v_mul_u32_u24_e32 v95, 0x48, v95
	s_delay_alu instid0(VALU_DEP_2) | instskip(SKIP_1) | instid1(VALU_DEP_3)
	v_add3_u32 v115, 0, v94, v114
	v_add3_u32 v94, 0, v157, v163
	;; [unrolled: 1-line block ×4, first 2 shown]
	s_wait_loadcnt_dscnt 0xf02
	v_mul_f64_e32 v[200:201], v[120:121], v[118:119]
	v_mul_f64_e32 v[118:119], v[32:33], v[118:119]
	s_wait_loadcnt 0xe
	v_mul_f64_e32 v[152:153], v[122:123], v[42:43]
	v_mul_f64_e32 v[42:43], v[34:35], v[42:43]
	v_fma_f64 v[38:39], v[38:39], v[76:77], -v[192:193]
	v_fma_f64 v[156:157], v[36:37], v[92:93], -v[178:179]
	v_fma_f64 v[92:93], v[166:167], v[92:93], v[190:191]
	ds_load_2addr_b64 v[163:166], v219 offset0:32 offset1:140
	ds_load_2addr_b64 v[190:193], v220 offset0:64 offset1:172
	v_fma_f64 v[178:179], v[168:169], v[76:77], v[78:79]
	ds_load_2addr_b64 v[76:79], v221 offset0:120 offset1:228
	v_add3_u32 v37, 0, v227, v230
	v_fma_f64 v[194:195], v[28:29], v[108:109], -v[194:195]
	v_fma_f64 v[229:230], v[170:171], v[108:109], v[110:111]
	ds_load_2addr_b64 v[108:111], v223 offset0:24 offset1:132
	ds_load_2addr_b64 v[167:170], v224 offset0:80 offset1:188
	v_add3_u32 v36, 0, v228, v225
	s_wait_loadcnt_dscnt 0xd06
	v_mul_f64_e32 v[225:226], v[174:175], v[46:47]
	v_mul_f64_e32 v[46:47], v[0:1], v[46:47]
	s_wait_loadcnt 0xc
	v_mul_f64_e32 v[227:228], v[176:177], v[50:51]
	v_fma_f64 v[29:30], v[30:31], v[112:113], -v[196:197]
	s_wait_loadcnt_dscnt 0xb05
	v_mul_f64_e32 v[196:197], v[159:160], v[58:59]
	v_fma_f64 v[171:172], v[172:173], v[112:113], v[198:199]
	s_wait_loadcnt 0x9
	v_mul_f64_e32 v[231:232], v[161:162], v[66:67]
	v_fma_f64 v[31:32], v[32:33], v[116:117], -v[200:201]
	v_mul_u32_u24_e32 v28, 0x48, v233
	v_lshlrev_b32_e32 v233, 3, v236
	s_wait_dscnt 0x4
	v_mul_f64_e32 v[112:113], v[163:164], v[54:55]
	s_wait_loadcnt 0x8
	v_mul_f64_e32 v[198:199], v[165:166], v[62:63]
	v_fma_f64 v[33:34], v[34:35], v[40:41], -v[152:153]
	v_mul_u32_u24_e32 v35, 0x48, v234
	v_fma_f64 v[116:117], v[120:121], v[116:117], v[118:119]
	s_wait_loadcnt_dscnt 0x703
	v_mul_f64_e32 v[118:119], v[190:191], v[70:71]
	s_wait_loadcnt_dscnt 0x502
	v_mul_f64_e32 v[152:153], v[76:77], v[82:83]
	v_mul_f64_e32 v[120:121], v[192:193], v[74:75]
	s_wait_loadcnt 0x4
	v_mul_f64_e32 v[200:201], v[78:79], v[86:87]
	v_add3_u32 v35, 0, v35, v233
	s_wait_loadcnt_dscnt 0x301
	v_mul_f64_e32 v[233:234], v[108:109], v[90:91]
	v_fma_f64 v[40:41], v[122:123], v[40:41], v[42:43]
	s_wait_loadcnt_dscnt 0x100
	v_mul_f64_e32 v[122:123], v[167:168], v[102:103]
	v_lshlrev_b32_e32 v173, 3, v235
	v_mul_f64_e32 v[42:43], v[110:111], v[98:99]
	s_wait_loadcnt 0x0
	v_mul_f64_e32 v[235:236], v[169:170], v[106:107]
	v_mul_f64_e32 v[54:55], v[20:21], v[54:55]
	v_mul_f64_e32 v[62:63], v[22:23], v[62:63]
	v_mul_f64_e32 v[50:51], v[2:3], v[50:51]
	v_mul_f64_e32 v[86:87], v[14:15], v[86:87]
	v_mul_f64_e32 v[90:91], v[8:9], v[90:91]
	v_mul_f64_e32 v[98:99], v[10:11], v[98:99]
	v_mul_f64_e32 v[102:103], v[4:5], v[102:103]
	v_mul_f64_e32 v[106:107], v[6:7], v[106:107]
	v_add3_u32 v28, 0, v28, v173
	v_fma_f64 v[0:1], v[0:1], v[44:45], -v[225:226]
	v_fma_f64 v[44:45], v[174:175], v[44:45], v[46:47]
	v_mul_f64_e32 v[46:47], v[24:25], v[58:59]
	v_mul_f64_e32 v[58:59], v[26:27], v[66:67]
	;; [unrolled: 1-line block ×5, first 2 shown]
	v_fma_f64 v[2:3], v[2:3], v[48:49], -v[227:228]
	v_fma_f64 v[24:25], v[24:25], v[56:57], -v[196:197]
	;; [unrolled: 1-line block ×5, first 2 shown]
	v_add_f64_e32 v[196:197], v[92:93], v[229:230]
	v_mul_u32_u24_e32 v112, 0x48, v155
	v_lshlrev_b32_e32 v113, 3, v148
	v_fma_f64 v[16:17], v[16:17], v[68:69], -v[118:119]
	v_fma_f64 v[12:13], v[12:13], v[80:81], -v[152:153]
	;; [unrolled: 1-line block ×4, first 2 shown]
	v_mul_u32_u24_e32 v82, 0x48, v154
	v_fma_f64 v[8:9], v[8:9], v[88:89], -v[233:234]
	v_add3_u32 v237, 0, v112, v113
	v_fma_f64 v[4:5], v[4:5], v[100:101], -v[122:123]
	v_lshlrev_b32_e32 v83, 3, v158
	v_fma_f64 v[10:11], v[10:11], v[96:97], -v[42:43]
	v_fma_f64 v[6:7], v[6:7], v[104:105], -v[235:236]
	v_fma_f64 v[52:53], v[163:164], v[52:53], v[54:55]
	v_fma_f64 v[54:55], v[165:166], v[60:61], v[62:63]
	;; [unrolled: 1-line block ×3, first 2 shown]
	ds_load_b64 v[42:43], v182
	ds_load_b64 v[112:113], v183
	;; [unrolled: 1-line block ×8, first 2 shown]
	v_add3_u32 v148, 0, v82, v83
	v_add_nc_u32_e32 v83, 0xc00, v206
	v_add_nc_u32_e32 v82, 0x1400, v206
	v_add_f64_e64 v[164:165], v[116:117], -v[44:45]
	v_fma_f64 v[46:47], v[159:160], v[56:57], v[46:47]
	v_fma_f64 v[58:59], v[161:162], v[64:65], v[58:59]
	;; [unrolled: 1-line block ×4, first 2 shown]
	v_add_f64_e32 v[72:73], v[156:157], v[194:195]
	v_fma_f64 v[64:65], v[76:77], v[80:81], v[74:75]
	v_add_f64_e32 v[74:75], v[38:39], v[29:30]
	v_add_f64_e32 v[76:77], v[31:32], v[0:1]
	v_fma_f64 v[66:67], v[78:79], v[84:85], v[86:87]
	v_add_f64_e32 v[78:79], v[33:34], v[2:3]
	;; [unrolled: 3-line block ×3, first 2 shown]
	v_fma_f64 v[70:71], v[110:111], v[96:97], v[98:99]
	v_add_f64_e32 v[98:99], v[16:17], v[12:13]
	v_fma_f64 v[88:89], v[167:168], v[100:101], v[102:103]
	v_add_f64_e32 v[102:103], v[18:19], v[14:15]
	;; [unrolled: 2-line block ×3, first 2 shown]
	v_add_f64_e32 v[86:87], v[128:129], v[38:39]
	v_add_f64_e32 v[104:105], v[8:9], v[4:5]
	v_add_f64_e64 v[108:109], v[92:93], -v[229:230]
	v_add_f64_e32 v[96:97], v[126:127], v[31:32]
	v_add_f64_e32 v[106:107], v[10:11], v[6:7]
	v_add_f64_e64 v[110:111], v[178:179], -v[171:172]
	v_add_f64_e32 v[100:101], v[124:125], v[33:34]
	v_add_f64_e64 v[166:167], v[40:41], -v[48:49]
	v_add_f64_e32 v[162:163], v[138:139], v[24:25]
	v_add_f64_e32 v[168:169], v[136:137], v[26:27]
	;; [unrolled: 1-line block ×6, first 2 shown]
	v_add_f64_e64 v[155:156], v[156:157], -v[194:195]
	v_add_f64_e64 v[38:39], v[38:39], -v[29:30]
	s_wait_dscnt 0x3
	v_add_f64_e32 v[92:93], v[50:51], v[92:93]
	v_fma_f64 v[50:51], v[196:197], -0.5, v[50:51]
	v_add_f64_e64 v[31:32], v[31:32], -v[0:1]
	v_add_f64_e64 v[198:199], v[46:47], -v[52:53]
	;; [unrolled: 1-line block ×5, first 2 shown]
	v_fma_f64 v[72:73], v[72:73], -0.5, v[130:131]
	v_add_f64_e64 v[225:226], v[60:61], -v[64:65]
	v_fma_f64 v[74:75], v[74:75], -0.5, v[128:129]
	v_fma_f64 v[76:77], v[76:77], -0.5, v[126:127]
	v_add_f64_e64 v[227:228], v[62:63], -v[66:67]
	v_fma_f64 v[78:79], v[78:79], -0.5, v[124:125]
	v_fma_f64 v[84:85], v[84:85], -0.5, v[138:139]
	v_add_f64_e32 v[126:127], v[116:117], v[44:45]
	v_fma_f64 v[90:91], v[90:91], -0.5, v[136:137]
	v_add_f64_e32 v[128:129], v[178:179], v[171:172]
	v_fma_f64 v[98:99], v[98:99], -0.5, v[134:135]
	v_add_f64_e64 v[231:232], v[68:69], -v[88:89]
	v_fma_f64 v[102:103], v[102:103], -0.5, v[132:133]
	v_add_f64_e64 v[233:234], v[70:71], -v[160:161]
	v_add_f64_e32 v[124:125], v[40:41], v[48:49]
	v_add_f64_e32 v[130:131], v[46:47], v[52:53]
	v_fma_f64 v[104:105], v[104:105], -0.5, v[144:145]
	v_add_f64_e32 v[132:133], v[58:59], v[54:55]
	v_add_f64_e32 v[134:135], v[60:61], v[64:65]
	v_fma_f64 v[106:107], v[106:107], -0.5, v[142:143]
	v_add_f64_e32 v[136:137], v[62:63], v[66:67]
	v_add_f64_e32 v[138:139], v[68:69], v[88:89]
	v_add_f64_e32 v[142:143], v[70:71], v[160:161]
	v_add_f64_e32 v[80:81], v[80:81], v[194:195]
	v_add_f64_e32 v[29:30], v[86:87], v[29:30]
	v_add_f64_e32 v[0:1], v[96:97], v[0:1]
	v_add_f64_e32 v[2:3], v[100:101], v[2:3]
	v_add_f64_e32 v[20:21], v[162:163], v[20:21]
	v_add_f64_e64 v[26:27], v[26:27], -v[22:23]
	v_add_f64_e32 v[22:23], v[168:169], v[22:23]
	v_add_f64_e64 v[16:17], v[16:17], -v[12:13]
	v_add_f64_e32 v[12:13], v[173:174], v[12:13]
	;; [unrolled: 2-line block ×3, first 2 shown]
	ds_load_b64 v[56:57], v150
	ds_load_b64 v[158:159], v147
	v_add_f64_e64 v[8:9], v[8:9], -v[4:5]
	v_add_f64_e32 v[4:5], v[190:191], v[4:5]
	v_add_f64_e64 v[10:11], v[10:11], -v[6:7]
	v_fma_f64 v[86:87], v[108:109], s[2:3], v[72:73]
	v_fma_f64 v[72:73], v[108:109], s[4:5], v[72:73]
	;; [unrolled: 1-line block ×18, first 2 shown]
	v_add_f64_e32 v[6:7], v[192:193], v[6:7]
	v_fma_f64 v[173:174], v[233:234], s[2:3], v[106:107]
	v_fma_f64 v[106:107], v[233:234], s[4:5], v[106:107]
	s_wait_dscnt 0x3
	v_add_f64_e32 v[116:117], v[151:152], v[116:117]
	v_fma_f64 v[126:127], v[126:127], -0.5, v[151:152]
	v_add_f64_e32 v[144:145], v[122:123], v[178:179]
	s_wait_dscnt 0x2
	v_add_f64_e32 v[40:41], v[153:154], v[40:41]
	v_fma_f64 v[122:123], v[128:129], -0.5, v[122:123]
	v_fma_f64 v[124:125], v[124:125], -0.5, v[153:154]
	v_add_f64_e32 v[46:47], v[42:43], v[46:47]
	v_add_f64_e32 v[58:59], v[112:113], v[58:59]
	;; [unrolled: 1-line block ×4, first 2 shown]
	s_wait_dscnt 0x1
	v_add_f64_e32 v[68:69], v[56:57], v[68:69]
	s_wait_dscnt 0x0
	v_add_f64_e32 v[175:176], v[158:159], v[70:71]
	v_fma_f64 v[42:43], v[130:131], -0.5, v[42:43]
	v_fma_f64 v[128:129], v[132:133], -0.5, v[112:113]
	;; [unrolled: 1-line block ×6, first 2 shown]
	global_wb scope:SCOPE_SE
	s_barrier_signal -1
	s_barrier_wait -1
	global_inv scope:SCOPE_SE
	v_add_f64_e32 v[177:178], v[92:93], v[229:230]
	ds_store_2addr_b64 v115, v[80:81], v[86:87] offset1:3
	ds_store_b64 v115, v[72:73] offset:48
	ds_store_2addr_b64 v114, v[29:30], v[96:97] offset1:3
	ds_store_b64 v114, v[74:75] offset:48
	;; [unrolled: 2-line block ×10, first 2 shown]
	v_fma_f64 v[20:21], v[155:156], s[4:5], v[50:51]
	v_fma_f64 v[22:23], v[155:156], s[2:3], v[50:51]
	global_wb scope:SCOPE_SE
	s_wait_dscnt 0x0
	s_barrier_signal -1
	s_barrier_wait -1
	global_inv scope:SCOPE_SE
	ds_load_b64 v[112:113], v146
	ds_load_b64 v[92:93], v147
	;; [unrolled: 1-line block ×6, first 2 shown]
	ds_load_2addr_b64 v[78:81], v214 offset0:16 offset1:124
	ds_load_2addr_b64 v[96:99], v222 offset0:104 offset1:212
	;; [unrolled: 1-line block ×8, first 2 shown]
	v_add_f64_e32 v[44:45], v[116:117], v[44:45]
	v_fma_f64 v[116:117], v[31:32], s[4:5], v[126:127]
	v_fma_f64 v[31:32], v[31:32], s[2:3], v[126:127]
	v_add_f64_e32 v[29:30], v[144:145], v[171:172]
	v_fma_f64 v[50:51], v[38:39], s[4:5], v[122:123]
	v_add_f64_e32 v[40:41], v[40:41], v[48:49]
	v_fma_f64 v[48:49], v[33:34], s[4:5], v[124:125]
	v_fma_f64 v[38:39], v[38:39], s[2:3], v[122:123]
	;; [unrolled: 1-line block ×3, first 2 shown]
	v_add_f64_e32 v[46:47], v[46:47], v[52:53]
	v_add_f64_e32 v[62:63], v[62:63], v[66:67]
	;; [unrolled: 1-line block ×3, first 2 shown]
	v_fma_f64 v[52:53], v[24:25], s[4:5], v[42:43]
	v_fma_f64 v[24:25], v[24:25], s[2:3], v[42:43]
	v_add_f64_e32 v[42:43], v[58:59], v[54:55]
	v_fma_f64 v[54:55], v[26:27], s[4:5], v[128:129]
	v_fma_f64 v[26:27], v[26:27], s[2:3], v[128:129]
	v_add_f64_e32 v[58:59], v[60:61], v[64:65]
	v_fma_f64 v[60:61], v[16:17], s[4:5], v[120:121]
	v_fma_f64 v[64:65], v[16:17], s[2:3], v[120:121]
	;; [unrolled: 1-line block ×7, first 2 shown]
	v_add_f64_e32 v[68:69], v[68:69], v[88:89]
	v_fma_f64 v[126:127], v[10:11], s[2:3], v[130:131]
	ds_load_2addr_b64 v[88:91], v205 offset0:56 offset1:164
	ds_load_2addr_b64 v[16:19], v220 offset0:64 offset1:172
	;; [unrolled: 1-line block ×4, first 2 shown]
	global_wb scope:SCOPE_SE
	s_wait_dscnt 0x0
	s_barrier_signal -1
	s_barrier_wait -1
	global_inv scope:SCOPE_SE
	ds_store_2addr_b64 v115, v[177:178], v[20:21] offset1:3
	v_mul_lo_u16 v20, v149, 57
	ds_store_b64 v115, v[22:23] offset:48
	ds_store_2addr_b64 v114, v[29:30], v[50:51] offset1:3
	ds_store_b64 v114, v[38:39] offset:48
	ds_store_2addr_b64 v94, v[44:45], v[116:117] offset1:3
	v_lshrrev_b16 v192, 9, v20
	v_mul_lo_u16 v20, v187, 57
	ds_store_b64 v94, v[31:32] offset:48
	ds_store_2addr_b64 v95, v[40:41], v[48:49] offset1:3
	ds_store_b64 v95, v[33:34] offset:48
	ds_store_2addr_b64 v37, v[46:47], v[52:53] offset1:3
	;; [unrolled: 2-line block ×3, first 2 shown]
	v_mul_lo_u16 v21, v192, 9
	v_lshrrev_b16 v190, 9, v20
	ds_store_b64 v36, v[26:27] offset:48
	ds_store_2addr_b64 v28, v[58:59], v[60:61] offset1:3
	ds_store_b64 v28, v[64:65] offset:48
	v_sub_nc_u16 v20, v208, v21
	v_mul_lo_u16 v21, v190, 9
	ds_store_2addr_b64 v35, v[62:63], v[66:67] offset1:3
	ds_store_b64 v35, v[118:119] offset:48
	ds_store_2addr_b64 v148, v[68:69], v[120:121] offset1:3
	v_and_b32_e32 v195, 0xff, v20
	v_sub_nc_u16 v20, v202, v21
	ds_store_b64 v148, v[56:57] offset:48
	ds_store_2addr_b64 v237, v[122:123], v[124:125] offset1:3
	ds_store_b64 v237, v[126:127] offset:48
	global_wb scope:SCOPE_SE
	s_wait_dscnt 0x0
	v_mul_u32_u24_e32 v21, 9, v195
	s_barrier_signal -1
	s_barrier_wait -1
	global_inv scope:SCOPE_SE
	v_and_b32_e32 v191, 0xff, v20
	v_lshlrev_b32_e32 v48, 4, v21
	s_delay_alu instid0(VALU_DEP_2)
	v_mul_u32_u24_e32 v20, 9, v191
	global_load_b128 v[114:117], v48, s[8:9] offset:144
	v_lshlrev_b32_e32 v40, 4, v20
	s_clause 0x4
	global_load_b128 v[118:121], v40, s[8:9] offset:144
	global_load_b128 v[122:125], v48, s[8:9] offset:176
	;; [unrolled: 1-line block ×5, first 2 shown]
	v_mul_u32_u24_e32 v20, 0xe38f, v186
	s_delay_alu instid0(VALU_DEP_1) | instskip(NEXT) | instid1(VALU_DEP_1)
	v_lshrrev_b32_e32 v193, 19, v20
	v_mul_lo_u16 v20, v193, 9
	v_mul_u32_u24_e32 v193, 0x2d0, v193
	s_delay_alu instid0(VALU_DEP_2) | instskip(NEXT) | instid1(VALU_DEP_1)
	v_sub_nc_u16 v20, v203, v20
	v_and_b32_e32 v194, 0xffff, v20
	s_delay_alu instid0(VALU_DEP_1) | instskip(SKIP_1) | instid1(VALU_DEP_2)
	v_mul_u32_u24_e32 v20, 9, v194
	v_lshlrev_b32_e32 v194, 3, v194
	v_lshlrev_b32_e32 v49, 4, v20
	s_clause 0x14
	global_load_b128 v[152:155], v40, s[8:9] offset:96
	global_load_b128 v[162:165], v49, s[8:9] offset:96
	;; [unrolled: 1-line block ×21, first 2 shown]
	ds_load_2addr_b64 v[130:133], v214 offset0:16 offset1:124
	ds_load_2addr_b64 v[156:159], v223 offset0:24 offset1:132
	ds_load_2addr_b64 v[237:240], v219 offset0:32 offset1:140
	ds_load_2addr_b64 v[241:244], v83 offset0:48 offset1:156
	ds_load_2addr_b64 v[245:248], v205 offset0:56 offset1:164
	ds_load_b64 v[178:179], v147
	v_add3_u32 v194, 0, v193, v194
	s_wait_loadcnt_dscnt 0x1a05
	v_mul_f64_e32 v[68:69], v[130:131], v[116:117]
	v_mul_f64_e32 v[94:95], v[78:79], v[116:117]
	s_wait_loadcnt 0x19
	v_mul_f64_e32 v[116:117], v[132:133], v[120:121]
	v_mul_f64_e32 v[120:121], v[80:81], v[120:121]
	s_wait_loadcnt_dscnt 0x1804
	v_mul_f64_e32 v[126:127], v[156:157], v[124:125]
	v_mul_f64_e32 v[138:139], v[74:75], v[124:125]
	s_wait_loadcnt 0x17
	v_mul_f64_e32 v[160:161], v[158:159], v[136:137]
	s_wait_loadcnt_dscnt 0x1101
	v_mul_f64_e32 v[200:201], v[247:248], v[172:173]
	v_mul_f64_e32 v[172:173], v[90:91], v[172:173]
	v_fma_f64 v[128:129], v[78:79], v[114:115], -v[68:69]
	v_fma_f64 v[124:125], v[130:131], v[114:115], v[94:95]
	v_mul_f64_e32 v[68:69], v[76:77], v[136:137]
	v_mul_f64_e32 v[78:79], v[237:238], v[144:145]
	;; [unrolled: 1-line block ×5, first 2 shown]
	v_fma_f64 v[130:131], v[80:81], v[118:119], -v[116:117]
	v_mul_f64_e32 v[80:81], v[70:71], v[144:145]
	v_mul_f64_e32 v[144:145], v[241:242], v[154:155]
	;; [unrolled: 1-line block ×3, first 2 shown]
	v_fma_f64 v[120:121], v[132:133], v[118:119], v[120:121]
	v_fma_f64 v[136:137], v[74:75], v[122:123], -v[126:127]
	v_fma_f64 v[132:133], v[156:157], v[122:123], v[138:139]
	v_fma_f64 v[138:139], v[76:77], v[134:135], -v[160:161]
	v_mul_f64_e32 v[164:165], v[86:87], v[164:165]
	v_fma_f64 v[122:123], v[158:159], v[134:135], v[68:69]
	v_mul_f64_e32 v[134:135], v[245:246], v[168:169]
	v_fma_f64 v[126:127], v[70:71], v[142:143], -v[78:79]
	ds_load_2addr_b64 v[68:71], v82 offset0:116 offset1:224
	v_fma_f64 v[118:119], v[72:73], v[148:149], -v[94:95]
	s_wait_loadcnt_dscnt 0x1001
	v_mul_f64_e32 v[94:95], v[178:179], v[176:177]
	v_mul_f64_e32 v[168:169], v[88:89], v[168:169]
	v_fma_f64 v[116:117], v[237:238], v[142:143], v[80:81]
	v_fma_f64 v[158:159], v[86:87], v[162:163], -v[154:155]
	v_mul_f64_e32 v[154:155], v[92:93], v[176:177]
	ds_load_2addr_b64 v[72:75], v222 offset0:104 offset1:212
	v_fma_f64 v[114:115], v[239:240], v[148:149], v[114:115]
	ds_load_2addr_b64 v[80:83], v220 offset0:64 offset1:172
	ds_load_2addr_b64 v[76:79], v207 offset0:112 offset1:220
	v_fma_f64 v[156:157], v[84:85], v[152:153], -v[144:145]
	v_fma_f64 v[148:149], v[241:242], v[152:153], v[150:151]
	ds_load_b64 v[160:161], v146
	v_fma_f64 v[142:143], v[90:91], v[170:171], -v[200:201]
	v_fma_f64 v[150:151], v[243:244], v[162:163], v[164:165]
	s_wait_loadcnt 0xf
	v_mul_f64_e32 v[162:163], v[100:101], v[198:199]
	s_wait_loadcnt 0xc
	v_mul_f64_e32 v[200:201], v[14:15], v[235:236]
	s_wait_dscnt 0x4
	v_mul_f64_e32 v[176:177], v[68:69], v[198:199]
	s_wait_dscnt 0x3
	v_mul_f64_e32 v[198:199], v[74:75], v[227:228]
	v_mul_f64_e32 v[227:228], v[98:99], v[227:228]
	s_wait_dscnt 0x2
	v_mul_f64_e32 v[237:238], v[80:81], v[231:232]
	;; [unrolled: 3-line block ×3, first 2 shown]
	s_wait_loadcnt 0xb
	v_mul_f64_e32 v[235:236], v[70:71], v[26:27]
	s_wait_loadcnt 0xa
	v_mul_f64_e32 v[241:242], v[72:73], v[22:23]
	v_mul_f64_e32 v[22:23], v[96:97], v[22:23]
	v_fma_f64 v[146:147], v[88:89], v[166:167], -v[134:135]
	ds_load_2addr_b64 v[88:91], v215 offset0:72 offset1:180
	ds_load_2addr_b64 v[84:87], v221 offset0:120 offset1:228
	v_fma_f64 v[134:135], v[247:248], v[170:171], v[172:173]
	s_wait_loadcnt 0x7
	v_mul_f64_e32 v[170:171], v[76:77], v[34:35]
	v_fma_f64 v[152:153], v[92:93], v[174:175], -v[94:95]
	ds_load_2addr_b64 v[92:95], v224 offset0:80 offset1:188
	v_fma_f64 v[144:145], v[245:246], v[166:167], v[168:169]
	v_mul_f64_e32 v[168:169], v[82:83], v[30:31]
	v_fma_f64 v[154:155], v[178:179], v[174:175], v[154:155]
	v_mul_f64_e32 v[166:167], v[4:5], v[38:39]
	s_wait_loadcnt 0x5
	v_mul_f64_e32 v[178:179], v[8:9], v[66:67]
	v_mul_f64_e32 v[172:173], v[2:3], v[62:63]
	;; [unrolled: 1-line block ×3, first 2 shown]
	v_fma_f64 v[68:69], v[68:69], v[196:197], v[162:163]
	s_wait_dscnt 0x2
	v_mul_f64_e32 v[164:165], v[88:89], v[38:39]
	s_wait_dscnt 0x1
	v_mul_f64_e32 v[162:163], v[86:87], v[62:63]
	v_fma_f64 v[100:101], v[100:101], v[196:197], -v[176:177]
	s_wait_loadcnt 0x4
	v_mul_f64_e32 v[176:177], v[160:161], v[42:43]
	v_fma_f64 v[62:63], v[78:79], v[233:234], v[200:201]
	s_wait_dscnt 0x0
	v_mul_f64_e32 v[174:175], v[92:93], v[66:67]
	v_mul_f64_e32 v[78:79], v[102:103], v[26:27]
	ds_load_b64 v[66:67], v181
	v_fma_f64 v[98:99], v[98:99], v[225:226], -v[198:199]
	v_fma_f64 v[38:39], v[74:75], v[225:226], v[227:228]
	v_fma_f64 v[74:75], v[16:17], v[229:230], -v[237:238]
	v_fma_f64 v[16:17], v[80:81], v[229:230], v[231:232]
	v_fma_f64 v[80:81], v[14:15], v[233:234], -v[239:240]
	v_fma_f64 v[14:15], v[102:103], v[24:25], -v[235:236]
	;; [unrolled: 1-line block ×3, first 2 shown]
	v_fma_f64 v[20:21], v[72:73], v[20:21], v[22:23]
	ds_load_b64 v[96:97], v213
	v_add_f64_e64 v[235:236], v[116:117], -v[132:133]
	v_add_f64_e64 v[239:240], v[132:133], -v[116:117]
	v_fma_f64 v[12:13], v[12:13], v[32:33], -v[170:171]
	v_fma_f64 v[102:103], v[18:19], v[28:29], -v[168:169]
	v_mul_f64_e32 v[18:19], v[18:19], v[30:31]
	s_wait_loadcnt 0x3
	v_mul_f64_e32 v[30:31], v[84:85], v[46:47]
	v_mul_f64_e32 v[46:47], v[0:1], v[46:47]
	v_fma_f64 v[22:23], v[76:77], v[32:33], v[34:35]
	v_add_f64_e64 v[241:242], v[68:69], -v[120:121]
	v_fma_f64 v[4:5], v[4:5], v[36:37], -v[164:165]
	v_fma_f64 v[36:37], v[88:89], v[36:37], v[166:167]
	s_wait_loadcnt 0x1
	v_mul_f64_e32 v[164:165], v[94:95], v[58:59]
	v_fma_f64 v[2:3], v[2:3], v[60:61], -v[162:163]
	v_mul_f64_e32 v[58:59], v[10:11], v[58:59]
	v_fma_f64 v[8:9], v[8:9], v[64:65], -v[174:175]
	v_fma_f64 v[64:65], v[92:93], v[64:65], v[178:179]
	v_fma_f64 v[92:93], v[112:113], v[40:41], -v[176:177]
	v_mul_f64_e32 v[112:113], v[112:113], v[42:43]
	v_fma_f64 v[24:25], v[70:71], v[24:25], v[78:79]
	v_mul_f64_e32 v[88:89], v[90:91], v[54:55]
	v_mul_f64_e32 v[54:55], v[6:7], v[54:55]
	v_fma_f64 v[60:61], v[86:87], v[60:61], v[172:173]
	v_and_b32_e32 v42, 0xffff, v192
	v_lshlrev_b32_e32 v43, 3, v195
	v_add_f64_e64 v[70:71], v[98:99], -v[152:153]
	v_add_f64_e64 v[76:77], v[38:39], -v[154:155]
	;; [unrolled: 1-line block ×3, first 2 shown]
	v_mul_u32_u24_e32 v42, 0x2d0, v42
	v_add_f64_e64 v[168:169], v[14:15], -v[26:27]
	v_add_f64_e32 v[172:173], v[128:129], v[136:137]
	v_lshlrev_b32_e32 v192, 3, v191
	s_delay_alu instid0(VALU_DEP_4)
	v_add3_u32 v42, 0, v42, v43
	v_add_f64_e64 v[174:175], v[142:143], -v[102:103]
	v_fma_f64 v[18:19], v[82:83], v[28:29], v[18:19]
	v_fma_f64 v[0:1], v[0:1], v[44:45], -v[30:31]
	v_fma_f64 v[32:33], v[84:85], v[44:45], v[46:47]
	v_add_f64_e64 v[82:83], v[100:101], -v[130:131]
	v_add_f64_e64 v[84:85], v[118:119], -v[138:139]
	;; [unrolled: 1-line block ×3, first 2 shown]
	v_fma_f64 v[10:11], v[10:11], v[56:57], -v[164:165]
	v_add_f64_e64 v[164:165], v[16:17], -v[144:145]
	v_fma_f64 v[30:31], v[94:95], v[56:57], v[58:59]
	v_add_f64_e64 v[162:163], v[4:5], -v[8:9]
	v_add_f64_e64 v[166:167], v[36:37], -v[64:65]
	v_add_f64_e64 v[45:46], v[92:93], -v[128:129]
	v_fma_f64 v[40:41], v[160:161], v[40:41], v[112:113]
	v_add_f64_e64 v[160:161], v[74:75], -v[146:147]
	v_fma_f64 v[6:7], v[6:7], v[52:53], -v[88:89]
	v_fma_f64 v[28:29], v[90:91], v[52:53], v[54:55]
	v_add_f64_e64 v[53:54], v[154:155], -v[38:39]
	v_add_f64_e64 v[55:56], v[60:61], -v[62:63]
	;; [unrolled: 1-line block ×9, first 2 shown]
	v_fma_f64 v[172:173], v[172:173], -0.5, v[108:109]
	v_and_b32_e32 v59, 0xffff, v190
	v_add_f64_e64 v[229:230], v[18:19], -v[134:135]
	v_add_f64_e64 v[227:228], v[12:13], -v[0:1]
	v_add_f64_e64 v[170:171], v[0:1], -v[12:13]
	v_add_f64_e64 v[178:179], v[134:135], -v[18:19]
	v_add_f64_e32 v[82:83], v[82:83], v[84:85]
	v_add_f64_e32 v[84:85], v[130:131], v[138:139]
	v_add_f64_e64 v[243:244], v[22:23], -v[32:33]
	v_mul_u32_u24_e32 v59, 0x2d0, v59
	s_delay_alu instid0(VALU_DEP_1)
	v_add3_u32 v201, 0, v59, v192
	v_add_f64_e32 v[164:165], v[164:165], v[166:167]
	v_add_f64_e64 v[166:167], v[32:33], -v[22:23]
	v_add_f64_e64 v[233:234], v[40:41], -v[124:125]
	v_add_f64_e32 v[160:161], v[160:161], v[162:163]
	v_add_f64_e64 v[162:163], v[24:25], -v[20:21]
	v_add_f64_e64 v[231:232], v[28:29], -v[30:31]
	;; [unrolled: 1-line block ×3, first 2 shown]
	v_add_f64_e32 v[53:54], v[53:54], v[55:56]
	v_add_f64_e64 v[55:56], v[122:123], -v[114:115]
	v_add_f64_e64 v[176:177], v[10:11], -v[6:7]
	;; [unrolled: 1-line block ×3, first 2 shown]
	v_add_f64_e32 v[70:71], v[70:71], v[72:73]
	v_add_f64_e32 v[72:73], v[98:99], v[80:81]
	;; [unrolled: 1-line block ×6, first 2 shown]
	v_add_f64_e64 v[195:196], v[30:31], -v[28:29]
	v_add_f64_e32 v[226:227], v[225:226], v[227:228]
	v_add_f64_e32 v[168:169], v[168:169], v[170:171]
	;; [unrolled: 1-line block ×3, first 2 shown]
	v_add_nc_u32_e32 v225, 0x1000, v206
	v_fma_f64 v[84:85], v[84:85], -0.5, v[106:107]
	v_add_f64_e32 v[162:163], v[162:163], v[166:167]
	ds_load_b64 v[166:167], v206
	s_wait_loadcnt_dscnt 0x2
	v_mul_f64_e32 v[86:87], v[66:67], v[50:51]
	v_mul_f64_e32 v[50:51], v[110:111], v[50:51]
	v_add_f64_e32 v[228:229], v[229:230], v[231:232]
	v_add_f64_e32 v[232:233], v[233:234], v[235:236]
	;; [unrolled: 1-line block ×10, first 2 shown]
	v_fma_f64 v[94:95], v[94:95], -0.5, v[156:157]
	v_add_f64_e32 v[178:179], v[178:179], v[195:196]
	v_add_f64_e64 v[195:196], v[20:21], -v[24:25]
	v_fma_f64 v[170:171], v[170:171], -0.5, v[104:105]
	v_fma_f64 v[34:35], v[110:111], v[48:49], -v[86:87]
	v_fma_f64 v[43:44], v[66:67], v[48:49], v[50:51]
	v_add_f64_e64 v[47:48], v[126:127], -v[136:137]
	v_add_f64_e64 v[49:50], v[152:153], -v[98:99]
	;; [unrolled: 1-line block ×6, first 2 shown]
	v_fma_f64 v[176:177], v[176:177], -0.5, v[104:105]
	v_add_f64_e32 v[104:105], v[104:105], v[14:15]
	v_fma_f64 v[199:200], v[199:200], -0.5, v[158:159]
	v_fma_f64 v[230:231], v[230:231], -0.5, v[158:159]
	v_add_f64_e32 v[158:159], v[158:159], v[142:143]
	v_add_f64_e64 v[142:143], v[142:143], -v[10:11]
	v_add_f64_e32 v[195:196], v[195:196], v[243:244]
	v_add_f64_e64 v[14:15], v[14:15], -v[0:1]
	v_fma_f64 v[72:73], v[72:73], -0.5, v[34:35]
	v_fma_f64 v[78:79], v[78:79], -0.5, v[34:35]
	v_add_f64_e32 v[45:46], v[45:46], v[47:48]
	v_add_f64_e64 v[47:48], v[114:115], -v[122:123]
	v_add_f64_e32 v[49:50], v[49:50], v[51:52]
	v_add_f64_e64 v[51:52], v[120:121], -v[68:69]
	v_add_f64_e32 v[57:58], v[57:58], v[66:67]
	v_add_f64_e32 v[66:67], v[92:93], v[126:127]
	;; [unrolled: 1-line block ×7, first 2 shown]
	v_fma_f64 v[234:235], v[234:235], -0.5, v[43:44]
	v_fma_f64 v[238:239], v[238:239], -0.5, v[43:44]
	v_add_f64_e32 v[43:44], v[43:44], v[154:155]
	v_add_f64_e32 v[104:105], v[104:105], v[26:27]
	;; [unrolled: 1-line block ×3, first 2 shown]
	v_add_f64_e64 v[26:27], v[26:27], -v[12:13]
	v_add_f64_e64 v[102:103], v[102:103], -v[6:7]
	;; [unrolled: 1-line block ×4, first 2 shown]
	v_add_f64_e32 v[47:48], v[241:242], v[47:48]
	v_add_f64_e32 v[240:241], v[124:125], v[132:133]
	;; [unrolled: 1-line block ×4, first 2 shown]
	v_fma_f64 v[66:67], v[66:67], -0.5, v[108:109]
	v_add_f64_e32 v[108:109], v[108:109], v[92:93]
	v_fma_f64 v[88:89], v[88:89], -0.5, v[106:107]
	v_add_f64_e32 v[106:107], v[106:107], v[100:101]
	;; [unrolled: 2-line block ×3, first 2 shown]
	v_add_f64_e32 v[34:35], v[34:35], v[98:99]
	v_add_f64_e64 v[98:99], v[98:99], -v[80:81]
	v_add_f64_e32 v[43:44], v[43:44], v[38:39]
	ds_load_b64 v[242:243], v212
	v_add_f64_e64 v[38:39], v[38:39], -v[62:63]
	v_add_f64_e32 v[12:13], v[104:105], v[12:13]
	v_add_f64_e32 v[104:105], v[20:21], v[22:23]
	;; [unrolled: 1-line block ×4, first 2 shown]
	v_add_f64_e64 v[92:93], v[92:93], -v[126:127]
	v_add_f64_e64 v[146:147], v[146:147], -v[8:9]
	;; [unrolled: 1-line block ×3, first 2 shown]
	global_wb scope:SCOPE_SE
	s_wait_dscnt 0x0
	s_barrier_signal -1
	s_barrier_wait -1
	global_inv scope:SCOPE_SE
	v_fma_f64 v[240:241], v[240:241], -0.5, v[166:167]
	v_fma_f64 v[55:56], v[55:56], -0.5, v[166:167]
	v_add_f64_e32 v[166:167], v[166:167], v[40:41]
	v_add_f64_e32 v[108:109], v[108:109], v[128:129]
	v_add_f64_e64 v[128:129], v[128:129], -v[136:137]
	v_add_f64_e32 v[106:107], v[106:107], v[130:131]
	v_add_f64_e64 v[130:131], v[130:131], -v[138:139]
	v_add_f64_e32 v[156:157], v[156:157], v[74:75]
	v_add_f64_e32 v[34:35], v[34:35], v[80:81]
	;; [unrolled: 1-line block ×3, first 2 shown]
	v_add_f64_e64 v[74:75], v[74:75], -v[4:5]
	v_add_f64_e32 v[43:44], v[43:44], v[62:63]
	v_add_f64_e32 v[62:63], v[134:135], v[30:31]
	v_add_f64_e64 v[40:41], v[40:41], -v[116:117]
	v_fma_f64 v[104:105], v[104:105], -0.5, v[96:97]
	v_add_f64_e32 v[0:1], v[12:13], v[0:1]
	v_fma_f64 v[158:159], v[158:159], -0.5, v[96:97]
	v_add_f64_e32 v[96:97], v[96:97], v[24:25]
	v_add_f64_e64 v[24:25], v[24:25], -v[32:33]
	v_add_f64_e32 v[6:7], v[6:7], v[10:11]
	s_wait_alu 0xfffe
	v_fma_f64 v[192:193], v[92:93], s[0:1], v[240:241]
	v_add_f64_e32 v[166:167], v[166:167], v[124:125]
	v_add_f64_e32 v[108:109], v[108:109], v[136:137]
	;; [unrolled: 1-line block ×7, first 2 shown]
	v_add_f64_e64 v[124:125], v[124:125], -v[132:133]
	v_fma_f64 v[80:81], v[80:81], -0.5, v[242:243]
	v_add_f64_e32 v[2:3], v[34:35], v[2:3]
	v_fma_f64 v[62:63], v[62:63], -0.5, v[150:151]
	v_fma_f64 v[34:35], v[152:153], s[0:1], v[234:235]
	v_fma_f64 v[234:235], v[152:153], s[14:15], v[234:235]
	v_add_f64_e32 v[43:44], v[43:44], v[60:61]
	v_add_f64_e32 v[96:97], v[96:97], v[20:21]
	v_add_f64_e64 v[20:21], v[20:21], -v[22:23]
	v_add_f64_e32 v[132:133], v[166:167], v[132:133]
	v_add_f64_e32 v[166:167], v[18:19], v[28:29]
	v_fma_f64 v[136:137], v[136:137], -0.5, v[242:243]
	v_add_f64_e32 v[242:243], v[242:243], v[68:69]
	v_fma_f64 v[138:139], v[138:139], -0.5, v[148:149]
	;; [unrolled: 2-line block ×3, first 2 shown]
	v_add_f64_e32 v[148:149], v[148:149], v[144:145]
	v_fma_f64 v[126:127], v[40:41], s[14:15], v[172:173]
	v_fma_f64 v[172:173], v[40:41], s[0:1], v[172:173]
	v_add_f64_e64 v[144:145], v[144:145], -v[64:65]
	v_add_f64_e64 v[68:69], v[68:69], -v[114:115]
	v_fma_f64 v[34:35], v[98:99], s[12:13], v[34:35]
	v_add_f64_e32 v[106:107], v[106:107], v[118:119]
	v_add_f64_e32 v[4:5], v[4:5], v[8:9]
	;; [unrolled: 1-line block ×3, first 2 shown]
	v_fma_f64 v[96:97], v[98:99], s[14:15], v[238:239]
	v_fma_f64 v[238:239], v[98:99], s[0:1], v[238:239]
	;; [unrolled: 1-line block ×5, first 2 shown]
	v_add_f64_e32 v[59:60], v[132:133], v[116:117]
	v_fma_f64 v[166:167], v[166:167], -0.5, v[150:151]
	v_add_f64_e32 v[150:151], v[150:151], v[134:135]
	v_add_f64_e32 v[242:243], v[242:243], v[120:121]
	v_add_f64_e64 v[120:121], v[120:121], -v[122:123]
	v_add_f64_e64 v[134:135], v[134:135], -v[30:31]
	v_fma_f64 v[234:235], v[74:75], s[14:15], v[156:157]
	v_add_f64_e32 v[148:149], v[148:149], v[16:17]
	v_add_f64_e64 v[16:17], v[16:17], -v[36:37]
	v_fma_f64 v[126:127], v[124:125], s[20:21], v[126:127]
	v_fma_f64 v[156:157], v[74:75], s[0:1], v[156:157]
	;; [unrolled: 1-line block ×3, first 2 shown]
	v_add_f64_e32 v[22:23], v[22:23], v[32:33]
	v_fma_f64 v[96:97], v[152:153], s[12:13], v[96:97]
	v_fma_f64 v[152:153], v[152:153], s[20:21], v[238:239]
	;; [unrolled: 1-line block ×7, first 2 shown]
	v_add_f64_e32 v[150:151], v[150:151], v[18:19]
	v_add_f64_e32 v[122:123], v[242:243], v[122:123]
	v_fma_f64 v[242:243], v[124:125], s[0:1], v[66:67]
	v_fma_f64 v[66:67], v[124:125], s[14:15], v[66:67]
	v_add_f64_e64 v[18:19], v[18:19], -v[28:29]
	v_add_f64_e32 v[36:37], v[148:149], v[36:37]
	v_fma_f64 v[148:149], v[38:39], s[0:1], v[78:79]
	v_fma_f64 v[78:79], v[38:39], s[14:15], v[78:79]
	;; [unrolled: 1-line block ×6, first 2 shown]
	v_mul_f64_e32 v[98:99], s[20:21], v[34:35]
	v_fma_f64 v[32:33], v[45:46], s[18:19], v[126:127]
	v_fma_f64 v[96:97], v[76:77], s[18:19], v[96:97]
	v_fma_f64 v[76:77], v[76:77], s[18:19], v[152:153]
	v_fma_f64 v[84:85], v[120:121], s[12:13], v[84:85]
	v_fma_f64 v[8:9], v[228:229], s[18:19], v[8:9]
	v_fma_f64 v[61:62], v[228:229], s[18:19], v[62:63]
	v_add_f64_e32 v[28:29], v[150:151], v[28:29]
	v_fma_f64 v[150:151], v[154:155], s[14:15], v[72:73]
	v_fma_f64 v[72:73], v[154:155], s[0:1], v[72:73]
	;; [unrolled: 1-line block ×16, first 2 shown]
	v_mul_f64_e32 v[116:117], s[14:15], v[96:97]
	v_add_f64_e32 v[36:37], v[36:37], v[64:65]
	v_fma_f64 v[45:46], v[45:46], s[18:19], v[124:125]
	v_add_f64_e32 v[28:29], v[28:29], v[30:31]
	v_fma_f64 v[150:151], v[38:39], s[20:21], v[150:151]
	v_fma_f64 v[38:39], v[38:39], s[12:13], v[72:73]
	;; [unrolled: 1-line block ×29, first 2 shown]
	v_add_f64_e32 v[30:31], v[108:109], v[2:3]
	v_add_f64_e64 v[2:3], v[108:109], -v[2:3]
	v_add_f64_e32 v[108:109], v[106:107], v[4:5]
	v_add_f64_e64 v[4:5], v[106:107], -v[4:5]
	;; [unrolled: 2-line block ×3, first 2 shown]
	v_fma_f64 v[38:39], v[49:50], s[18:19], v[38:39]
	v_fma_f64 v[49:50], v[49:50], s[18:19], v[150:151]
	;; [unrolled: 1-line block ×15, first 2 shown]
	v_mul_f64_e32 v[132:133], s[18:19], v[78:79]
	v_fma_f64 v[166:167], v[14:15], s[0:1], v[104:105]
	v_fma_f64 v[104:105], v[14:15], s[14:15], v[104:105]
	;; [unrolled: 1-line block ×4, first 2 shown]
	v_mul_f64_e32 v[90:91], s[20:21], v[172:173]
	v_fma_f64 v[146:147], v[164:165], s[18:19], v[146:147]
	v_fma_f64 v[134:135], v[197:198], s[18:19], v[134:135]
	v_mul_f64_e32 v[156:157], s[14:15], v[8:9]
	v_fma_f64 v[142:143], v[130:131], s[12:13], v[142:143]
	v_fma_f64 v[130:131], v[130:131], s[20:21], v[136:137]
	;; [unrolled: 1-line block ×10, first 2 shown]
	v_mul_f64_e32 v[138:139], s[22:23], v[38:39]
	v_fma_f64 v[86:87], v[160:161], s[18:19], v[154:155]
	v_fma_f64 v[144:145], v[174:175], s[18:19], v[144:145]
	v_mul_f64_e32 v[150:151], s[18:19], v[112:113]
	v_mul_f64_e32 v[148:149], s[14:15], v[190:191]
	v_fma_f64 v[18:19], v[174:175], s[18:19], v[18:19]
	v_mul_f64_e32 v[160:161], s[18:19], v[118:119]
	v_fma_f64 v[20:21], v[20:21], s[12:13], v[170:171]
	v_fma_f64 v[102:103], v[178:179], s[18:19], v[102:103]
	;; [unrolled: 1-line block ×5, first 2 shown]
	v_add_f64_e32 v[100:101], v[122:123], v[114:115]
	v_fma_f64 v[114:115], v[57:58], s[18:19], v[242:243]
	v_fma_f64 v[57:58], v[49:50], s[22:23], v[98:99]
	;; [unrolled: 1-line block ×3, first 2 shown]
	v_fma_f64 v[116:117], v[76:77], s[14:15], -v[132:133]
	v_fma_f64 v[63:64], v[26:27], s[12:13], v[166:167]
	v_fma_f64 v[26:27], v[26:27], s[20:21], v[104:105]
	;; [unrolled: 1-line block ×3, first 2 shown]
	v_mul_f64_e32 v[49:50], s[12:13], v[49:50]
	v_fma_f64 v[122:123], v[82:83], s[18:19], v[234:235]
	v_fma_f64 v[82:83], v[82:83], s[18:19], v[84:85]
	;; [unrolled: 1-line block ×6, first 2 shown]
	v_mul_f64_e32 v[69:70], s[0:1], v[70:71]
	v_mul_f64_e32 v[76:77], s[18:19], v[76:77]
	v_fma_f64 v[14:15], v[14:15], s[20:21], v[158:159]
	v_mul_f64_e32 v[134:135], s[0:1], v[134:135]
	v_mul_f64_e32 v[152:153], s[22:23], v[94:95]
	v_fma_f64 v[84:85], v[16:17], s[22:23], v[90:91]
	v_fma_f64 v[24:25], v[168:169], s[18:19], v[24:25]
	v_mul_f64_e32 v[154:155], s[20:21], v[88:89]
	v_mul_f64_e32 v[16:17], s[12:13], v[16:17]
	v_fma_f64 v[120:121], v[53:54], s[20:21], -v[138:139]
	v_mul_f64_e32 v[53:54], s[22:23], v[53:54]
	v_mul_f64_e32 v[164:165], s[22:23], v[144:145]
	v_fma_f64 v[110:111], v[146:147], s[14:15], -v[150:151]
	v_fma_f64 v[90:91], v[86:87], s[18:19], v[148:149]
	v_mul_f64_e32 v[86:87], s[0:1], v[86:87]
	v_fma_f64 v[138:139], v[61:62], s[14:15], -v[160:161]
	v_fma_f64 v[20:21], v[168:169], s[18:19], v[20:21]
	v_mul_f64_e32 v[61:62], s[18:19], v[61:62]
	v_fma_f64 v[6:7], v[232:233], s[18:19], v[92:93]
	v_mul_f64_e32 v[92:93], s[18:19], v[146:147]
	v_fma_f64 v[71:72], v[236:237], s[18:19], v[72:73]
	v_add_f64_e32 v[146:147], v[32:33], v[57:58]
	v_add_f64_e32 v[150:151], v[114:115], v[98:99]
	v_add_f64_e64 v[32:33], v[32:33], -v[57:58]
	v_add_f64_e64 v[57:58], v[114:115], -v[98:99]
	v_fma_f64 v[26:27], v[162:163], s[18:19], v[26:27]
	v_fma_f64 v[63:64], v[162:163], s[18:19], v[63:64]
	;; [unrolled: 1-line block ×4, first 2 shown]
	v_fma_f64 v[69:70], v[78:79], s[0:1], -v[76:77]
	v_fma_f64 v[14:15], v[195:196], s[18:19], v[14:15]
	v_fma_f64 v[8:9], v[8:9], s[18:19], v[134:135]
	v_fma_f64 v[124:125], v[74:75], s[20:21], -v[152:153]
	v_mul_f64_e32 v[74:75], s[22:23], v[74:75]
	v_add_f64_e32 v[152:153], v[40:41], v[116:117]
	v_fma_f64 v[126:127], v[18:19], s[22:23], v[154:155]
	v_mul_f64_e32 v[18:19], s[12:13], v[18:19]
	v_add_f64_e32 v[154:155], v[45:46], v[120:121]
	v_add_f64_e64 v[40:41], v[40:41], -v[116:117]
	v_fma_f64 v[148:149], v[102:103], s[20:21], -v[164:165]
	v_mul_f64_e32 v[102:103], s[22:23], v[102:103]
	v_add_f64_e64 v[45:46], v[45:46], -v[120:121]
	v_add_f64_e32 v[98:99], v[122:123], v[84:85]
	v_add_f64_e32 v[114:115], v[65:66], v[90:91]
	;; [unrolled: 1-line block ×3, first 2 shown]
	v_add_f64_e64 v[84:85], v[122:123], -v[84:85]
	v_add_f64_e64 v[65:66], v[65:66], -v[90:91]
	;; [unrolled: 1-line block ×3, first 2 shown]
	v_add_f64_e32 v[110:111], v[10:11], v[132:133]
	v_add_f64_e32 v[122:123], v[12:13], v[138:139]
	v_add_f64_e64 v[10:11], v[10:11], -v[132:133]
	v_add_f64_e64 v[12:13], v[12:13], -v[138:139]
	v_fma_f64 v[38:39], v[38:39], s[12:13], -v[53:54]
	v_fma_f64 v[16:17], v[172:173], s[22:23], v[16:17]
	v_fma_f64 v[53:54], v[190:191], s[18:19], v[86:87]
	v_fma_f64 v[76:77], v[112:113], s[0:1], -v[92:93]
	v_add_nc_u32_e32 v164, 0x1800, v206
	v_add_f64_e32 v[120:121], v[82:83], v[124:125]
	v_add_f64_e64 v[82:83], v[82:83], -v[124:125]
	v_fma_f64 v[73:74], v[94:95], s[12:13], -v[74:75]
	v_add_f64_e32 v[90:91], v[24:25], v[126:127]
	v_add_f64_e64 v[24:25], v[24:25], -v[126:127]
	v_fma_f64 v[126:127], v[232:233], s[18:19], v[128:129]
	v_fma_f64 v[128:129], v[47:48], s[18:19], v[142:143]
	v_add_f64_e32 v[124:125], v[20:21], v[148:149]
	v_add_f64_e64 v[20:21], v[20:21], -v[148:149]
	v_fma_f64 v[47:48], v[47:48], s[18:19], v[130:131]
	v_fma_f64 v[130:131], v[51:52], s[18:19], v[136:137]
	;; [unrolled: 1-line block ×4, first 2 shown]
	ds_store_2addr_b64 v42, v[30:31], v[146:147] offset1:9
	ds_store_2addr_b64 v42, v[150:151], v[152:153] offset0:18 offset1:27
	ds_store_2addr_b64 v42, v[154:155], v[2:3] offset0:36 offset1:45
	ds_store_2addr_b64 v42, v[32:33], v[57:58] offset0:54 offset1:63
	ds_store_2addr_b64 v42, v[40:41], v[45:46] offset0:72 offset1:81
	ds_store_2addr_b64 v201, v[108:109], v[98:99] offset1:9
	ds_store_2addr_b64 v201, v[114:115], v[116:117] offset0:18 offset1:27
	ds_store_2addr_b64 v201, v[120:121], v[4:5] offset0:36 offset1:45
	ds_store_2addr_b64 v201, v[84:85], v[65:66] offset0:54 offset1:63
	ds_store_2addr_b64 v201, v[67:68], v[82:83] offset0:72 offset1:81
	;; [unrolled: 5-line block ×3, first 2 shown]
	v_fma_f64 v[4:5], v[118:119], s[0:1], -v[61:62]
	v_fma_f64 v[10:11], v[144:145], s[12:13], -v[102:103]
	v_fma_f64 v[18:19], v[88:89], s[22:23], v[18:19]
	v_add_f64_e32 v[40:41], v[59:60], v[43:44]
	v_add_f64_e32 v[45:46], v[6:7], v[34:35]
	;; [unrolled: 1-line block ×4, first 2 shown]
	v_add_f64_e64 v[43:44], v[59:60], -v[43:44]
	v_add_f64_e64 v[55:56], v[55:56], -v[69:70]
	v_add_f64_e32 v[59:60], v[126:127], v[38:39]
	v_add_f64_e64 v[67:68], v[126:127], -v[38:39]
	v_add_f64_e64 v[65:66], v[6:7], -v[34:35]
	;; [unrolled: 1-line block ×3, first 2 shown]
	v_add_f64_e32 v[69:70], v[100:101], v[36:37]
	v_add_f64_e32 v[78:79], v[128:129], v[16:17]
	v_add_f64_e64 v[82:83], v[128:129], -v[16:17]
	v_add_f64_e32 v[84:85], v[130:131], v[53:54]
	v_add_f64_e64 v[53:54], v[130:131], -v[53:54]
	v_add_f64_e32 v[86:87], v[51:52], v[76:77]
	v_add_f64_e32 v[92:93], v[80:81], v[8:9]
	v_add_f64_e64 v[71:72], v[100:101], -v[36:37]
	v_add_f64_e64 v[51:52], v[51:52], -v[76:77]
	v_add_f64_e32 v[75:76], v[47:48], v[73:74]
	v_add_f64_e64 v[47:48], v[47:48], -v[73:74]
	v_add_f64_e64 v[88:89], v[22:23], -v[28:29]
	v_add_f64_e32 v[73:74], v[22:23], v[28:29]
	v_add_f64_e64 v[80:81], v[80:81], -v[8:9]
	global_wb scope:SCOPE_SE
	s_wait_dscnt 0x0
	s_barrier_signal -1
	s_barrier_wait -1
	global_inv scope:SCOPE_SE
	ds_load_b64 v[152:153], v206
	ds_load_b64 v[150:151], v212
	;; [unrolled: 1-line block ×6, first 2 shown]
	ds_load_2addr_b64 v[120:123], v205 offset0:56 offset1:164
	ds_load_2addr_b64 v[0:3], v222 offset0:104 offset1:212
	;; [unrolled: 1-line block ×3, first 2 shown]
	v_mov_b32_e32 v143, 0
	v_cmp_gt_u32_e64 s0, 0x5a, v208
	v_add_f64_e32 v[94:95], v[14:15], v[4:5]
	v_add_f64_e32 v[96:97], v[26:27], v[10:11]
	;; [unrolled: 1-line block ×3, first 2 shown]
	v_add_f64_e64 v[63:64], v[63:64], -v[18:19]
	v_add_f64_e64 v[98:99], v[14:15], -v[4:5]
	;; [unrolled: 1-line block ×3, first 2 shown]
	ds_load_2addr_b64 v[4:7], v219 offset0:32 offset1:140
	ds_load_2addr_b64 v[36:39], v225 offset0:136 offset1:244
	ds_load_2addr_b64 v[32:35], v220 offset0:64 offset1:172
	ds_load_2addr_b64 v[28:31], v221 offset0:120 offset1:228
	ds_load_2addr_b64 v[20:23], v214 offset0:16 offset1:124
	ds_load_2addr_b64 v[12:15], v215 offset0:72 offset1:180
	ds_load_2addr_b64 v[8:11], v164 offset0:96 offset1:204
	ds_load_2addr_b64 v[24:27], v223 offset0:24 offset1:132
	ds_load_2addr_b64 v[16:19], v224 offset0:80 offset1:188
	global_wb scope:SCOPE_SE
	s_wait_dscnt 0x0
	s_barrier_signal -1
	s_barrier_wait -1
	global_inv scope:SCOPE_SE
	ds_store_2addr_b64 v42, v[40:41], v[45:46] offset1:9
	v_mul_lo_u16 v40, 0xb7, v187
	v_add_nc_u32_e32 v41, 0xffffffa6, v208
	ds_store_2addr_b64 v42, v[57:58], v[61:62] offset0:18 offset1:27
	ds_store_2addr_b64 v42, v[59:60], v[43:44] offset0:36 offset1:45
	;; [unrolled: 1-line block ×4, first 2 shown]
	v_lshrrev_b16 v161, 14, v40
	s_wait_alu 0xf1ff
	v_cndmask_b32_e64 v163, v41, v208, s0
	ds_store_2addr_b64 v201, v[69:70], v[78:79] offset1:9
	ds_store_2addr_b64 v201, v[84:85], v[86:87] offset0:18 offset1:27
	ds_store_2addr_b64 v201, v[75:76], v[71:72] offset0:36 offset1:45
	v_mul_lo_u16 v40, 0x5a, v161
	v_mul_i32_i24_e32 v142, 5, v163
	ds_store_2addr_b64 v201, v[82:83], v[53:54] offset0:54 offset1:63
	ds_store_2addr_b64 v201, v[51:52], v[47:48] offset0:72 offset1:81
	ds_store_2addr_b64 v194, v[73:74], v[90:91] offset1:9
	v_sub_nc_u16 v42, v202, v40
	v_lshlrev_b64_e32 v[40:41], 4, v[142:143]
	ds_store_2addr_b64 v194, v[92:93], v[94:95] offset0:18 offset1:27
	ds_store_2addr_b64 v194, v[96:97], v[88:89] offset0:36 offset1:45
	;; [unrolled: 1-line block ×4, first 2 shown]
	global_wb scope:SCOPE_SE
	s_wait_dscnt 0x0
	s_barrier_signal -1
	v_and_b32_e32 v142, 0xff, v42
	s_barrier_wait -1
	v_add_co_u32 v44, s0, s8, v40
	s_wait_alu 0xf1ff
	v_add_co_ci_u32_e64 v45, s0, s9, v41, s0
	v_mul_u32_u24_e32 v42, 5, v142
	global_inv scope:SCOPE_SE
	v_mul_u32_u24_e32 v41, 0x2d83, v186
	v_cmp_lt_u32_e64 s0, 0x59, v208
	v_lshlrev_b32_e32 v142, 3, v142
	v_lshlrev_b32_e32 v40, 4, v42
	s_clause 0x1
	global_load_b128 v[136:139], v[44:45], off offset:1408
	global_load_b128 v[169:172], v40, s[8:9] offset:1408
	v_lshrrev_b32_e32 v165, 20, v41
	s_clause 0x4
	global_load_b128 v[173:176], v[44:45], off offset:1440
	global_load_b128 v[96:99], v40, s[8:9] offset:1392
	global_load_b128 v[124:127], v40, s[8:9] offset:1424
	;; [unrolled: 1-line block ×4, first 2 shown]
	v_mul_lo_u16 v41, 0x5a, v165
	v_mul_u32_u24_e32 v42, 0x2d83, v184
	s_delay_alu instid0(VALU_DEP_2) | instskip(NEXT) | instid1(VALU_DEP_2)
	v_sub_nc_u16 v41, v203, v41
	v_lshrrev_b32_e32 v167, 20, v42
	s_delay_alu instid0(VALU_DEP_2) | instskip(NEXT) | instid1(VALU_DEP_1)
	v_and_b32_e32 v160, 0xffff, v41
	v_mul_u32_u24_e32 v41, 5, v160
	v_lshlrev_b32_e32 v179, 3, v160
	s_delay_alu instid0(VALU_DEP_2)
	v_lshlrev_b32_e32 v48, 4, v41
	v_mul_u32_u24_e32 v41, 0x2d83, v185
	s_clause 0x1
	global_load_b128 v[128:131], v48, s[8:9] offset:1392
	global_load_b128 v[132:135], v48, s[8:9] offset:1424
	v_lshrrev_b32_e32 v162, 20, v41
	global_load_b128 v[112:115], v48, s[8:9] offset:1456
	v_mul_lo_u16 v41, 0x5a, v162
	s_delay_alu instid0(VALU_DEP_1) | instskip(NEXT) | instid1(VALU_DEP_1)
	v_sub_nc_u16 v41, v204, v41
	v_and_b32_e32 v166, 0xffff, v41
	v_mul_lo_u16 v41, 0x5a, v167
	v_mul_u32_u24_e32 v167, 0x10e0, v167
	s_delay_alu instid0(VALU_DEP_3) | instskip(NEXT) | instid1(VALU_DEP_3)
	v_mul_u32_u24_e32 v40, 5, v166
	v_sub_nc_u16 v41, v180, v41
	s_delay_alu instid0(VALU_DEP_2) | instskip(NEXT) | instid1(VALU_DEP_2)
	v_lshlrev_b32_e32 v52, 4, v40
	v_and_b32_e32 v168, 0xffff, v41
	global_load_b128 v[100:103], v52, s[8:9] offset:1424
	v_mul_u32_u24_e32 v40, 5, v168
	v_lshlrev_b32_e32 v168, 3, v168
	s_delay_alu instid0(VALU_DEP_2)
	v_lshlrev_b32_e32 v64, 4, v40
	s_clause 0xd
	global_load_b128 v[92:95], v64, s[8:9] offset:1424
	global_load_b128 v[80:83], v48, s[8:9] offset:1408
	;; [unrolled: 1-line block ×3, first 2 shown]
	global_load_b128 v[76:79], v[44:45], off offset:1424
	global_load_b128 v[84:87], v[44:45], off offset:1456
	;; [unrolled: 1-line block ×3, first 2 shown]
	global_load_b128 v[72:75], v52, s[8:9] offset:1456
	global_load_b128 v[88:91], v64, s[8:9] offset:1456
	;; [unrolled: 1-line block ×8, first 2 shown]
	ds_load_2addr_b64 v[184:187], v205 offset0:56 offset1:164
	ds_load_2addr_b64 v[190:193], v207 offset0:112 offset1:220
	;; [unrolled: 1-line block ×3, first 2 shown]
	s_wait_loadcnt_dscnt 0x1802
	v_mul_f64_e32 v[156:157], v[184:185], v[138:139]
	v_mul_f64_e32 v[138:139], v[120:121], v[138:139]
	s_wait_loadcnt 0x17
	v_mul_f64_e32 v[198:199], v[186:187], v[171:172]
	s_wait_loadcnt_dscnt 0x1601
	v_mul_f64_e32 v[200:201], v[190:191], v[175:176]
	v_mul_f64_e32 v[226:227], v[104:105], v[175:176]
	ds_load_2addr_b64 v[175:178], v220 offset0:64 offset1:172
	s_wait_loadcnt_dscnt 0x1501
	v_mul_f64_e32 v[232:233], v[194:195], v[98:99]
	v_mul_f64_e32 v[234:235], v[36:37], v[98:99]
	;; [unrolled: 1-line block ×3, first 2 shown]
	s_wait_loadcnt 0x13
	v_mul_f64_e32 v[228:229], v[192:193], v[110:111]
	v_mul_f64_e32 v[230:231], v[106:107], v[110:111]
	v_mul_f64_e32 v[238:239], v[32:33], v[126:127]
	s_wait_dscnt 0x0
	v_mul_f64_e32 v[236:237], v[175:176], v[126:127]
	s_wait_alu 0xf1ff
	v_cndmask_b32_e64 v126, 0, 0x10e0, s0
	v_lshlrev_b32_e32 v127, 3, v163
	v_mul_u32_u24_e32 v163, 0x10e0, v165
	s_wait_loadcnt 0x10
	v_mul_f64_e32 v[240:241], v[177:178], v[134:135]
	v_mul_f64_e32 v[134:135], v[34:35], v[134:135]
	v_fma_f64 v[158:159], v[120:121], v[136:137], -v[156:157]
	v_fma_f64 v[110:111], v[184:185], v[136:137], v[138:139]
	v_mul_f64_e32 v[184:185], v[196:197], v[130:131]
	v_fma_f64 v[156:157], v[122:123], v[169:170], -v[198:199]
	v_mul_f64_e32 v[198:199], v[38:39], v[130:131]
	ds_load_2addr_b64 v[136:139], v221 offset0:120 offset1:228
	ds_load_2addr_b64 v[120:123], v223 offset0:24 offset1:132
	v_fma_f64 v[98:99], v[190:191], v[173:174], v[226:227]
	v_fma_f64 v[36:37], v[36:37], v[96:97], -v[232:233]
	v_fma_f64 v[96:97], v[194:195], v[96:97], v[234:235]
	v_fma_f64 v[130:131], v[186:187], v[169:170], v[171:172]
	v_fma_f64 v[104:105], v[104:105], v[173:174], -v[200:201]
	v_fma_f64 v[106:107], v[106:107], v[108:109], -v[228:229]
	v_fma_f64 v[108:109], v[192:193], v[108:109], v[230:231]
	s_wait_loadcnt 0xf
	v_mul_f64_e32 v[200:201], v[30:31], v[114:115]
	ds_load_2addr_b64 v[169:172], v214 offset0:16 offset1:124
	s_wait_dscnt 0x2
	v_mul_f64_e32 v[190:191], v[136:137], v[118:119]
	v_mul_f64_e32 v[118:119], v[28:29], v[118:119]
	s_wait_loadcnt_dscnt 0xe01
	v_mul_f64_e32 v[194:195], v[120:121], v[102:103]
	v_mul_f64_e32 v[226:227], v[24:25], v[102:103]
	;; [unrolled: 1-line block ×3, first 2 shown]
	v_add3_u32 v114, 0, v126, v127
	v_and_b32_e32 v115, 0xffff, v161
	s_wait_loadcnt 0x7
	v_mul_f64_e32 v[160:161], v[16:17], v[74:75]
	v_fma_f64 v[34:35], v[34:35], v[132:133], -v[240:241]
	v_fma_f64 v[132:133], v[177:178], v[132:133], v[134:135]
	s_wait_dscnt 0x0
	v_mul_f64_e32 v[134:135], v[171:172], v[42:43]
	v_mul_f64_e32 v[228:229], v[169:170], v[82:83]
	;; [unrolled: 1-line block ×3, first 2 shown]
	v_mul_u32_u24_e32 v165, 0x10e0, v115
	v_fma_f64 v[38:39], v[38:39], v[128:129], -v[184:185]
	ds_load_2addr_b64 v[184:187], v222 offset0:104 offset1:212
	v_fma_f64 v[102:103], v[196:197], v[128:129], v[198:199]
	ds_load_2addr_b64 v[126:129], v219 offset0:32 offset1:140
	v_fma_f64 v[198:199], v[32:33], v[124:125], -v[236:237]
	v_fma_f64 v[32:33], v[175:176], v[124:125], v[238:239]
	ds_load_2addr_b64 v[173:176], v224 offset0:80 offset1:188
	v_mul_f64_e32 v[196:197], v[122:123], v[94:95]
	v_mul_f64_e32 v[94:95], v[26:27], v[94:95]
	ds_load_b64 v[124:125], v183
	v_mul_f64_e32 v[42:43], v[22:23], v[42:43]
	s_wait_dscnt 0x3
	v_mul_f64_e32 v[177:178], v[186:187], v[78:79]
	v_mul_f64_e32 v[78:79], v[2:3], v[78:79]
	s_wait_dscnt 0x2
	v_mul_f64_e32 v[230:231], v[128:129], v[86:87]
	v_mul_f64_e32 v[86:87], v[6:7], v[86:87]
	v_fma_f64 v[136:137], v[136:137], v[116:117], v[118:119]
	v_fma_f64 v[24:25], v[24:25], v[100:101], -v[194:195]
	v_fma_f64 v[100:101], v[120:121], v[100:101], v[226:227]
	s_wait_dscnt 0x1
	v_mul_f64_e32 v[119:120], v[173:174], v[74:75]
	v_mul_u32_u24_e32 v194, 0x10e0, v162
	v_add3_u32 v74, 0, v163, v179
	s_wait_loadcnt 0x6
	v_mul_f64_e32 v[162:163], v[175:176], v[90:91]
	v_mul_f64_e32 v[90:91], v[18:19], v[90:91]
	v_fma_f64 v[190:191], v[28:29], v[116:117], -v[190:191]
	ds_load_2addr_b64 v[115:118], v215 offset0:72 offset1:180
	v_fma_f64 v[192:193], v[30:31], v[112:113], -v[192:193]
	ds_load_2addr_b64 v[28:31], v164 offset0:96 offset1:204
	v_fma_f64 v[112:113], v[138:139], v[112:113], v[200:201]
	ds_load_b64 v[138:139], v182
	s_wait_dscnt 0x3
	v_mul_f64_e32 v[200:201], v[124:125], v[46:47]
	v_mul_f64_e32 v[46:47], v[154:155], v[46:47]
	v_add3_u32 v75, 0, v165, v142
	v_lshlrev_b32_e32 v142, 3, v166
	s_wait_loadcnt 0x4
	v_mul_f64_e32 v[165:166], v[14:15], v[50:51]
	v_fma_f64 v[22:23], v[22:23], v[40:41], -v[134:135]
	v_fma_f64 v[26:27], v[26:27], v[92:93], -v[196:197]
	v_fma_f64 v[92:93], v[122:123], v[92:93], v[94:95]
	v_fma_f64 v[20:21], v[20:21], v[80:81], -v[228:229]
	v_fma_f64 v[80:81], v[169:170], v[80:81], v[82:83]
	v_fma_f64 v[40:41], v[171:172], v[40:41], v[42:43]
	v_add_f64_e32 v[228:229], v[130:131], v[108:109]
	v_add_nc_u32_e32 v179, 0x800, v114
	v_add_nc_u32_e32 v232, 0x400, v74
	;; [unrolled: 1-line block ×3, first 2 shown]
	s_wait_dscnt 0x2
	v_mul_f64_e32 v[94:95], v[115:116], v[62:63]
	v_mul_f64_e32 v[62:63], v[12:13], v[62:63]
	;; [unrolled: 1-line block ×3, first 2 shown]
	s_wait_loadcnt_dscnt 0x201
	v_mul_f64_e32 v[134:135], v[30:31], v[70:71]
	v_mul_f64_e32 v[70:71], v[10:11], v[70:71]
	v_fma_f64 v[2:3], v[2:3], v[76:77], -v[177:178]
	v_fma_f64 v[76:77], v[186:187], v[76:77], v[78:79]
	v_fma_f64 v[6:7], v[6:7], v[84:85], -v[230:231]
	v_fma_f64 v[84:85], v[128:129], v[84:85], v[86:87]
	s_wait_loadcnt 0x1
	v_mul_f64_e32 v[78:79], v[184:185], v[58:59]
	v_mul_f64_e32 v[58:59], v[0:1], v[58:59]
	;; [unrolled: 1-line block ×4, first 2 shown]
	s_wait_loadcnt 0x0
	v_mul_f64_e32 v[86:87], v[126:127], v[66:67]
	v_mul_f64_e32 v[66:67], v[4:5], v[66:67]
	v_fma_f64 v[16:17], v[16:17], v[72:73], -v[119:120]
	v_fma_f64 v[72:73], v[173:174], v[72:73], v[160:161]
	v_fma_f64 v[18:19], v[18:19], v[88:89], -v[162:163]
	v_fma_f64 v[88:89], v[175:176], v[88:89], v[90:91]
	v_add3_u32 v50, 0, v167, v168
	v_add3_u32 v51, 0, v194, v142
	v_add_f64_e64 v[169:170], v[132:133], -v[112:113]
	v_add_nc_u32_e32 v142, 0x400, v114
	v_fma_f64 v[128:129], v[154:155], v[44:45], -v[200:201]
	v_fma_f64 v[44:45], v[124:125], v[44:45], v[46:47]
	ds_load_b64 v[90:91], v206
	ds_load_b64 v[119:120], v212
	;; [unrolled: 1-line block ×4, first 2 shown]
	v_add_f64_e32 v[200:201], v[110:111], v[98:99]
	v_fma_f64 v[46:47], v[117:118], v[48:49], v[165:166]
	v_add_f64_e32 v[117:118], v[132:133], v[112:113]
	v_add_f64_e32 v[175:176], v[146:147], v[22:23]
	;; [unrolled: 1-line block ×4, first 2 shown]
	v_add_nc_u32_e32 v230, 0x400, v75
	v_add_nc_u32_e32 v231, 0x800, v75
	;; [unrolled: 1-line block ×6, first 2 shown]
	v_fma_f64 v[12:13], v[12:13], v[60:61], -v[94:95]
	v_fma_f64 v[42:43], v[115:116], v[60:61], v[62:63]
	v_fma_f64 v[14:15], v[14:15], v[48:49], -v[121:122]
	v_fma_f64 v[10:11], v[10:11], v[68:69], -v[134:135]
	v_fma_f64 v[30:31], v[30:31], v[68:69], v[70:71]
	v_add_f64_e32 v[70:71], v[32:33], v[136:137]
	v_add_f64_e32 v[62:63], v[152:153], v[158:159]
	;; [unrolled: 1-line block ×4, first 2 shown]
	v_fma_f64 v[0:1], v[0:1], v[56:57], -v[78:79]
	v_fma_f64 v[48:49], v[184:185], v[56:57], v[58:59]
	v_add_f64_e32 v[56:57], v[2:3], v[6:7]
	v_fma_f64 v[8:9], v[8:9], v[52:53], -v[82:83]
	v_fma_f64 v[28:29], v[28:29], v[52:53], v[54:55]
	v_fma_f64 v[4:5], v[4:5], v[64:65], -v[86:87]
	v_fma_f64 v[52:53], v[126:127], v[64:65], v[66:67]
	v_add_f64_e32 v[66:67], v[198:199], v[190:191]
	v_add_f64_e32 v[86:87], v[34:35], v[192:193]
	;; [unrolled: 1-line block ×10, first 2 shown]
	v_add_f64_e64 v[2:3], v[2:3], -v[6:7]
	v_add_f64_e64 v[94:95], v[76:77], -v[84:85]
	v_add_f64_e32 v[76:77], v[44:45], v[76:77]
	v_add_f64_e32 v[82:83], v[38:39], v[34:35]
	v_add_f64_e64 v[115:116], v[198:199], -v[190:191]
	v_add_f64_e64 v[121:122], v[32:33], -v[136:137]
	;; [unrolled: 1-line block ×3, first 2 shown]
	v_add_f64_e32 v[32:33], v[96:97], v[32:33]
	v_add_f64_e64 v[177:178], v[100:101], -v[72:73]
	s_wait_dscnt 0x2
	v_add_f64_e32 v[226:227], v[119:120], v[130:131]
	v_add_f64_e64 v[196:197], v[92:93], -v[88:89]
	v_add_f64_e64 v[156:157], v[156:157], -v[106:107]
	v_add_f64_e32 v[134:135], v[20:21], v[12:13]
	v_add_f64_e64 v[158:159], v[158:159], -v[104:105]
	v_add_f64_e32 v[173:174], v[22:23], v[14:15]
	v_add_f64_e32 v[184:185], v[10:11], v[26:27]
	v_add_f64_e64 v[26:27], v[26:27], -v[18:19]
	v_fma_f64 v[70:71], v[70:71], -0.5, v[96:97]
	v_fma_f64 v[96:97], v[117:118], -0.5, v[102:103]
	s_wait_dscnt 0x0
	v_add_f64_e32 v[117:118], v[160:161], v[40:41]
	v_fma_f64 v[44:45], v[60:61], -0.5, v[44:45]
	v_add_f64_e32 v[60:61], v[30:31], v[92:93]
	v_add_f64_e32 v[194:195], v[144:145], v[0:1]
	v_fma_f64 v[56:57], v[56:57], -0.5, v[128:129]
	v_add_f64_e32 v[171:172], v[8:9], v[24:25]
	v_add_f64_e64 v[24:25], v[24:25], -v[16:17]
	v_add_f64_e32 v[186:187], v[0:1], v[4:5]
	v_add_f64_e32 v[100:101], v[28:29], v[100:101]
	v_fma_f64 v[36:37], v[66:67], -0.5, v[36:37]
	v_fma_f64 v[38:39], v[86:87], -0.5, v[38:39]
	;; [unrolled: 1-line block ×6, first 2 shown]
	v_add_f64_e64 v[125:126], v[130:131], -v[108:109]
	v_add_f64_e32 v[6:7], v[54:55], v[6:7]
	v_fma_f64 v[54:55], v[58:59], -0.5, v[152:153]
	v_add_f64_e32 v[58:59], v[62:63], v[104:105]
	v_add_f64_e32 v[62:63], v[64:65], v[190:191]
	v_fma_f64 v[64:65], v[68:69], -0.5, v[150:151]
	v_add_f64_e32 v[68:69], v[78:79], v[106:107]
	v_add_f64_e32 v[78:79], v[82:83], v[192:193]
	;; [unrolled: 1-line block ×3, first 2 shown]
	v_add_f64_e64 v[110:111], v[110:111], -v[98:99]
	v_add_f64_e32 v[76:77], v[76:77], v[84:85]
	v_add_f64_e32 v[32:33], v[32:33], v[136:137]
	;; [unrolled: 1-line block ×6, first 2 shown]
	v_fma_f64 v[82:83], v[134:135], -0.5, v[148:149]
	v_add_f64_e32 v[102:103], v[154:155], v[80:81]
	v_fma_f64 v[104:105], v[173:174], -0.5, v[146:147]
	v_add_f64_e32 v[86:87], v[48:49], v[52:53]
	v_add_f64_e64 v[20:21], v[20:21], -v[12:13]
	v_fma_f64 v[134:135], v[115:116], s[4:5], v[70:71]
	v_fma_f64 v[146:147], v[34:35], s[4:5], v[96:97]
	v_add_f64_e64 v[80:81], v[80:81], -v[42:43]
	v_fma_f64 v[106:107], v[2:3], s[4:5], v[44:45]
	v_fma_f64 v[2:3], v[2:3], s[2:3], v[44:45]
	;; [unrolled: 3-line block ×3, first 2 shown]
	v_add_f64_e64 v[48:49], v[48:49], -v[52:53]
	v_fma_f64 v[129:130], v[186:187], -0.5, v[144:145]
	v_add_f64_e64 v[22:23], v[22:23], -v[14:15]
	v_fma_f64 v[144:145], v[121:122], s[4:5], v[36:37]
	v_fma_f64 v[148:149], v[169:170], s[4:5], v[38:39]
	;; [unrolled: 1-line block ×6, first 2 shown]
	v_add_f64_e32 v[12:13], v[162:163], v[12:13]
	v_add_f64_e32 v[16:17], v[171:172], v[16:17]
	;; [unrolled: 1-line block ×3, first 2 shown]
	v_fma_f64 v[36:37], v[121:122], s[2:3], v[36:37]
	v_fma_f64 v[70:71], v[115:116], s[2:3], v[70:71]
	;; [unrolled: 1-line block ×8, first 2 shown]
	v_add_f64_e32 v[44:45], v[117:118], v[46:47]
	v_add_f64_e32 v[46:47], v[100:101], v[72:73]
	v_fma_f64 v[28:29], v[110:111], s[2:3], v[54:55]
	v_fma_f64 v[54:55], v[110:111], s[4:5], v[54:55]
	v_add_f64_e32 v[52:53], v[123:124], v[52:53]
	v_add_f64_e64 v[0:1], v[0:1], -v[4:5]
	v_add_f64_e32 v[18:19], v[184:185], v[18:19]
	v_add_f64_e32 v[4:5], v[194:195], v[4:5]
	v_fma_f64 v[90:91], v[200:201], -0.5, v[90:91]
	v_fma_f64 v[66:67], v[66:67], -0.5, v[154:155]
	v_mul_f64_e32 v[94:95], s[2:3], v[134:135]
	v_mul_f64_e32 v[100:101], s[2:3], v[146:147]
	v_fma_f64 v[92:93], v[92:93], -0.5, v[160:161]
	v_mul_f64_e32 v[30:31], s[2:3], v[106:107]
	v_add_f64_e32 v[42:43], v[102:103], v[42:43]
	v_add_f64_e32 v[102:103], v[132:133], v[112:113]
	v_mul_f64_e32 v[72:73], -0.5, v[127:128]
	v_mul_f64_e32 v[131:132], s[4:5], v[56:57]
	v_add_f64_e32 v[98:99], v[198:199], v[98:99]
	v_fma_f64 v[86:87], v[86:87], -0.5, v[138:139]
	v_mul_f64_e32 v[138:139], -0.5, v[2:3]
	v_mul_f64_e32 v[96:97], -0.5, v[144:145]
	;; [unrolled: 1-line block ×3, first 2 shown]
	v_mul_f64_e32 v[115:116], s[2:3], v[108:109]
	v_mul_f64_e32 v[117:118], -0.5, v[150:151]
	v_mul_f64_e32 v[121:122], s[2:3], v[136:137]
	v_mul_f64_e32 v[123:124], -0.5, v[152:153]
	v_fma_f64 v[119:120], v[228:229], -0.5, v[119:120]
	v_add_f64_e32 v[60:61], v[60:61], v[88:89]
	v_add_f64_e32 v[88:89], v[58:59], v[6:7]
	v_add_f64_e64 v[6:7], v[58:59], -v[6:7]
	v_fma_f64 v[58:59], v[125:126], s[2:3], v[64:65]
	v_add_f64_e32 v[112:113], v[68:69], v[62:63]
	v_fma_f64 v[64:65], v[125:126], s[4:5], v[64:65]
	v_add_f64_e64 v[62:63], v[68:69], -v[62:63]
	v_fma_f64 v[68:69], v[80:81], s[2:3], v[82:83]
	v_add_f64_e32 v[125:126], v[12:13], v[78:79]
	v_fma_f64 v[80:81], v[80:81], s[4:5], v[82:83]
	;; [unrolled: 4-line block ×3, first 2 shown]
	v_add_f64_e64 v[14:15], v[14:15], -v[16:17]
	v_mul_f64_e32 v[16:17], s[4:5], v[36:37]
	v_mul_f64_e32 v[104:105], -0.5, v[70:71]
	v_fma_f64 v[154:155], v[48:49], s[2:3], v[129:130]
	v_fma_f64 v[48:49], v[48:49], s[4:5], v[129:130]
	v_mul_f64_e32 v[129:130], s[4:5], v[38:39]
	v_mul_f64_e32 v[162:163], -0.5, v[34:35]
	v_mul_f64_e32 v[165:166], s[4:5], v[8:9]
	v_mul_f64_e32 v[167:168], -0.5, v[24:25]
	;; [unrolled: 2-line block ×3, first 2 shown]
	v_fma_f64 v[30:31], v[56:57], 0.5, v[30:31]
	v_fma_f64 v[2:3], v[2:3], s[2:3], v[72:73]
	v_fma_f64 v[36:37], v[36:37], 0.5, v[94:95]
	v_fma_f64 v[38:39], v[38:39], 0.5, v[100:101]
	v_add_f64_e32 v[160:161], v[4:5], v[18:19]
	v_add_f64_e64 v[4:5], v[4:5], -v[18:19]
	v_fma_f64 v[56:57], v[70:71], s[2:3], v[96:97]
	v_fma_f64 v[34:35], v[34:35], s[2:3], v[110:111]
	v_fma_f64 v[8:9], v[8:9], 0.5, v[115:116]
	v_fma_f64 v[24:25], v[24:25], s[2:3], v[117:118]
	v_fma_f64 v[10:11], v[10:11], 0.5, v[121:122]
	v_fma_f64 v[26:27], v[26:27], s[2:3], v[123:124]
	v_fma_f64 v[18:19], v[158:159], s[4:5], v[90:91]
	v_add_f64_e32 v[94:95], v[84:85], v[32:33]
	v_add_f64_e64 v[84:85], v[84:85], -v[32:33]
	v_fma_f64 v[32:33], v[20:21], s[4:5], v[66:67]
	v_fma_f64 v[20:21], v[20:21], s[2:3], v[66:67]
	;; [unrolled: 1-line block ×4, first 2 shown]
	v_fma_f64 v[92:93], v[106:107], 0.5, v[131:132]
	v_add_f64_e32 v[70:71], v[98:99], v[76:77]
	v_fma_f64 v[72:73], v[158:159], s[2:3], v[90:91]
	v_add_f64_e64 v[76:77], v[98:99], -v[76:77]
	v_fma_f64 v[98:99], v[127:128], s[4:5], v[138:139]
	v_fma_f64 v[90:91], v[156:157], s[4:5], v[119:120]
	;; [unrolled: 1-line block ×5, first 2 shown]
	v_fma_f64 v[16:17], v[134:135], 0.5, v[16:17]
	v_fma_f64 v[86:87], v[144:145], s[4:5], v[104:105]
	v_add_f64_e32 v[104:105], v[42:43], v[102:103]
	v_add_f64_e64 v[102:103], v[42:43], -v[102:103]
	v_fma_f64 v[42:43], v[146:147], 0.5, v[129:130]
	v_fma_f64 v[110:111], v[148:149], s[4:5], v[162:163]
	v_fma_f64 v[108:109], v[108:109], 0.5, v[165:166]
	v_fma_f64 v[115:116], v[150:151], s[4:5], v[167:168]
	;; [unrolled: 2-line block ×3, first 2 shown]
	v_add_f64_e32 v[121:122], v[28:29], v[30:31]
	v_add_f64_e32 v[123:124], v[54:55], v[2:3]
	v_add_f64_e64 v[28:29], v[28:29], -v[30:31]
	v_add_f64_e64 v[2:3], v[54:55], -v[2:3]
	v_add_f64_e32 v[30:31], v[58:59], v[36:37]
	v_add_f64_e64 v[36:37], v[58:59], -v[36:37]
	v_add_f64_e32 v[54:55], v[64:65], v[56:57]
	;; [unrolled: 2-line block ×3, first 2 shown]
	v_add_f64_e32 v[64:65], v[80:81], v[34:35]
	v_add_f64_e64 v[38:39], v[68:69], -v[38:39]
	v_add_f64_e64 v[34:35], v[80:81], -v[34:35]
	v_add_f64_e32 v[68:69], v[78:79], v[8:9]
	v_add_f64_e32 v[80:81], v[40:41], v[24:25]
	v_add_f64_e64 v[8:9], v[78:79], -v[8:9]
	v_add_f64_e64 v[24:25], v[40:41], -v[24:25]
	v_add_f64_e32 v[40:41], v[154:155], v[10:11]
	;; [unrolled: 4-line block ×3, first 2 shown]
	v_add_f64_e64 v[52:53], v[52:53], -v[60:61]
	v_add_f64_e32 v[60:61], v[18:19], v[92:93]
	v_add_f64_e32 v[129:130], v[72:73], v[98:99]
	global_wb scope:SCOPE_SE
	s_barrier_signal -1
	s_barrier_wait -1
	global_inv scope:SCOPE_SE
	v_add_f64_e32 v[106:107], v[44:45], v[46:47]
	v_add_f64_e64 v[48:49], v[44:45], -v[46:47]
	v_add_f64_e64 v[92:93], v[18:19], -v[92:93]
	;; [unrolled: 1-line block ×3, first 2 shown]
	v_add_f64_e32 v[98:99], v[90:91], v[16:17]
	v_add_f64_e32 v[131:132], v[96:97], v[86:87]
	v_add_f64_e64 v[90:91], v[90:91], -v[16:17]
	v_add_f64_e64 v[86:87], v[96:97], -v[86:87]
	v_add_f64_e32 v[96:97], v[32:33], v[42:43]
	v_add_f64_e64 v[133:134], v[32:33], -v[42:43]
	v_add_f64_e32 v[135:136], v[20:21], v[110:111]
	;; [unrolled: 2-line block ×6, first 2 shown]
	v_add_f64_e64 v[119:120], v[0:1], -v[119:120]
	ds_store_2addr_b64 v114, v[88:89], v[121:122] offset1:90
	ds_store_2addr_b64 v142, v[123:124], v[6:7] offset0:52 offset1:142
	ds_store_2addr_b64 v179, v[28:29], v[2:3] offset0:104 offset1:194
	ds_store_2addr_b64 v75, v[112:113], v[30:31] offset1:90
	ds_store_2addr_b64 v230, v[54:55], v[62:63] offset0:52 offset1:142
	ds_store_2addr_b64 v231, v[36:37], v[56:57] offset0:104 offset1:194
	;; [unrolled: 3-line block ×5, first 2 shown]
	global_wb scope:SCOPE_SE
	s_wait_dscnt 0x0
	s_barrier_signal -1
	s_barrier_wait -1
	global_inv scope:SCOPE_SE
	ds_load_b64 v[200:201], v183
	ds_load_b64 v[198:199], v182
	ds_load_b64 v[54:55], v206
	ds_load_b64 v[192:193], v212
	ds_load_b64 v[196:197], v181
	ds_load_b64 v[194:195], v213
	ds_load_2addr_b64 v[0:3], v205 offset0:56 offset1:164
	ds_load_2addr_b64 v[44:47], v222 offset0:104 offset1:212
	;; [unrolled: 1-line block ×12, first 2 shown]
	global_wb scope:SCOPE_SE
	s_wait_dscnt 0x0
	s_barrier_signal -1
	s_barrier_wait -1
	global_inv scope:SCOPE_SE
	ds_store_2addr_b64 v114, v[70:71], v[60:61] offset1:90
	ds_store_2addr_b64 v142, v[129:130], v[76:77] offset0:52 offset1:142
	ds_store_2addr_b64 v179, v[92:93], v[72:73] offset0:104 offset1:194
	ds_store_2addr_b64 v75, v[94:95], v[98:99] offset1:90
	ds_store_2addr_b64 v230, v[131:132], v[84:85] offset0:52 offset1:142
	ds_store_2addr_b64 v231, v[90:91], v[86:87] offset0:104 offset1:194
	;; [unrolled: 3-line block ×5, first 2 shown]
	global_wb scope:SCOPE_SE
	s_wait_dscnt 0x0
	s_barrier_signal -1
	s_barrier_wait -1
	global_inv scope:SCOPE_SE
	s_and_saveexec_b32 s0, vcc_lo
	s_cbranch_execz .LBB0_15
; %bb.14:
	v_mul_i32_i24_e32 v142, 5, v180
	v_mul_u32_u24_e32 v50, 5, v208
	scratch_store_b64 off, v[192:193], off  ; 8-byte Folded Spill
	v_dual_mov_b32 v193, v55 :: v_dual_mov_b32 v192, v54
	v_lshlrev_b64_e32 v[48:49], 4, v[142:143]
	v_lshlrev_b32_e32 v54, 4, v50
	v_mul_i32_i24_e32 v142, 5, v204
	v_sub_nc_u32_e32 v232, 0, v217
	v_sub_nc_u32_e32 v233, 0, v218
	v_mul_lo_u32 v234, s11, v140
	v_add_co_u32 v48, vcc_lo, s8, v48
	s_wait_alu 0xfffd
	v_add_co_ci_u32_e32 v49, vcc_lo, s9, v49, vcc_lo
	v_lshlrev_b64_e32 v[50:51], 4, v[142:143]
	v_mul_i32_i24_e32 v142, 5, v203
	s_clause 0x4
	global_load_b128 v[176:179], v54, s[8:9] offset:8624
	global_load_b128 v[172:175], v[48:49], off offset:8608
	global_load_b128 v[184:187], v54, s[8:9] offset:8656
	global_load_b128 v[180:183], v[48:49], off offset:8640
	global_load_b128 v[160:163], v[48:49], off offset:8624
	v_mul_lo_u32 v235, s10, v141
	v_mad_co_u64_u32 v[230:231], null, s10, v140, 0
	v_add_co_u32 v52, vcc_lo, s8, v50
	s_wait_alu 0xfffd
	v_add_co_ci_u32_e32 v53, vcc_lo, s9, v51, vcc_lo
	s_clause 0x5
	global_load_b128 v[148:151], v[52:53], off offset:8624
	global_load_b128 v[132:135], v[48:49], off offset:8656
	;; [unrolled: 1-line block ×3, first 2 shown]
	global_load_b128 v[112:115], v54, s[8:9] offset:8592
	global_load_b128 v[108:111], v54, s[8:9] offset:8608
	;; [unrolled: 1-line block ×3, first 2 shown]
	v_lshlrev_b64_e32 v[54:55], 4, v[142:143]
	v_mul_i32_i24_e32 v142, 5, v202
	s_clause 0x2
	global_load_b128 v[100:103], v[48:49], off offset:8592
	global_load_b128 v[72:75], v[52:53], off offset:8608
	;; [unrolled: 1-line block ×3, first 2 shown]
	v_add3_u32 v231, v231, v235, v234
	v_add_nc_u32_e32 v211, v211, v233
	v_lshlrev_b64_e32 v[56:57], 4, v[142:143]
	v_add_co_u32 v58, vcc_lo, s8, v54
	s_wait_alu 0xfffd
	v_add_co_ci_u32_e32 v59, vcc_lo, s9, v55, vcc_lo
	v_lshlrev_b64_e32 v[188:189], 4, v[188:189]
	s_delay_alu instid0(VALU_DEP_4)
	v_add_co_u32 v56, vcc_lo, s8, v56
	s_wait_alu 0xfffd
	v_add_co_ci_u32_e32 v57, vcc_lo, s9, v57, vcc_lo
	s_clause 0xa
	global_load_b128 v[80:83], v[52:53], off offset:8592
	global_load_b128 v[52:55], v[58:59], off offset:8608
	;; [unrolled: 1-line block ×11, first 2 shown]
	ds_load_2addr_b64 v[226:229], v222 offset0:104 offset1:212
	v_sub_nc_u32_e32 v222, 0, v216
	ds_load_2addr_b64 v[216:219], v219 offset0:32 offset1:140
	ds_load_2addr_b64 v[152:155], v164 offset0:96 offset1:204
	;; [unrolled: 1-line block ×11, first 2 shown]
	ds_load_b64 v[204:205], v213
	ds_load_b64 v[202:203], v212
	;; [unrolled: 1-line block ×3, first 2 shown]
	v_mul_hi_u32 v212, 0xf2b9d649, v208
	v_add_nc_u32_e32 v215, 0x6c, v208
	v_add_nc_u32_e32 v244, v209, v222
	s_delay_alu instid0(VALU_DEP_3) | instskip(NEXT) | instid1(VALU_DEP_1)
	v_lshrrev_b32_e32 v212, 9, v212
	v_mul_u32_u24_e32 v214, 0x21c, v212
	s_delay_alu instid0(VALU_DEP_1) | instskip(NEXT) | instid1(VALU_DEP_1)
	v_sub_nc_u32_e32 v241, v208, v214
	v_add_nc_u32_e32 v248, 0x654, v241
	v_add_nc_u32_e32 v249, 0x870, v241
	;; [unrolled: 1-line block ×3, first 2 shown]
	s_delay_alu instid0(VALU_DEP_3)
	v_mad_co_u64_u32 v[234:235], null, s16, v248, 0
	v_add_nc_u32_e32 v236, 0xd8, v208
	s_wait_loadcnt_dscnt 0x180e
	v_mul_f64_e32 v[220:221], v[176:177], v[228:229]
	s_wait_loadcnt 0x17
	v_mul_f64_e32 v[222:223], v[174:175], v[226:227]
	v_mul_f64_e32 v[224:225], v[172:173], v[226:227]
	s_wait_loadcnt_dscnt 0x160d
	v_mul_f64_e32 v[226:227], v[186:187], v[218:219]
	v_mul_f64_e32 v[218:219], v[184:185], v[218:219]
	s_delay_alu instid0(VALU_DEP_4) | instskip(NEXT) | instid1(VALU_DEP_4)
	v_fma_f64 v[172:173], v[44:45], v[172:173], -v[222:223]
	v_fma_f64 v[44:45], v[44:45], v[174:175], v[224:225]
	s_delay_alu instid0(VALU_DEP_4) | instskip(NEXT) | instid1(VALU_DEP_4)
	v_fma_f64 v[184:185], v[42:43], v[184:185], -v[226:227]
	v_fma_f64 v[42:43], v[42:43], v[186:187], v[218:219]
	v_mov_b32_e32 v187, v235
	v_mul_hi_u32 v213, 0xf2b9d649, v236
	s_delay_alu instid0(VALU_DEP_1) | instskip(SKIP_1) | instid1(VALU_DEP_2)
	v_lshrrev_b32_e32 v240, 9, v213
	v_mul_f64_e32 v[213:214], v[178:179], v[228:229]
	v_mul_u32_u24_e32 v228, 0x21c, v240
	s_delay_alu instid0(VALU_DEP_1)
	v_sub_nc_u32_e32 v250, v236, v228
	s_wait_loadcnt 0x15
	v_mul_f64_e32 v[228:229], v[182:183], v[216:217]
	v_mad_co_u64_u32 v[236:237], null, s16, v249, 0
	v_add_nc_u32_e32 v243, v210, v232
	v_mul_hi_u32 v210, 0xf2b9d649, v215
	v_mad_u32_u24 v250, 0xca8, v240, v250
	s_delay_alu instid0(VALU_DEP_1) | instskip(NEXT) | instid1(VALU_DEP_3)
	v_mad_co_u64_u32 v[174:175], null, s16, v250, 0
	v_lshrrev_b32_e32 v238, 9, v210
	ds_load_b64 v[209:210], v211
	v_lshlrev_b64_e32 v[211:212], 4, v[230:231]
	v_mul_u32_u24_e32 v230, 0x21c, v238
	s_delay_alu instid0(VALU_DEP_2) | instskip(SKIP_1) | instid1(VALU_DEP_3)
	v_add_co_u32 v231, vcc_lo, s6, v211
	s_wait_alu 0xfffd
	v_add_co_ci_u32_e32 v232, vcc_lo, s7, v212, vcc_lo
	v_mad_co_u64_u32 v[211:212], null, s16, v241, 0
	s_delay_alu instid0(VALU_DEP_3)
	v_add_co_u32 v188, vcc_lo, v231, v188
	v_fma_f64 v[176:177], v[46:47], v[176:177], -v[213:214]
	v_fma_f64 v[46:47], v[46:47], v[178:179], v[220:221]
	s_wait_alu 0xfffd
	v_add_co_ci_u32_e32 v189, vcc_lo, v232, v189, vcc_lo
	v_mov_b32_e32 v178, v212
	v_sub_nc_u32_e32 v239, v215, v230
	v_mul_f64_e32 v[215:216], v[180:181], v[216:217]
	v_mad_co_u64_u32 v[232:233], null, s16, v247, 0
	s_delay_alu instid0(VALU_DEP_4) | instskip(SKIP_2) | instid1(VALU_DEP_4)
	v_mad_co_u64_u32 v[178:179], null, s17, v241, v[178:179]
	v_fma_f64 v[180:181], v[40:41], v[180:181], -v[228:229]
	v_mad_u32_u24 v252, 0xca8, v238, v239
	v_dual_mov_b32 v186, v233 :: v_dual_add_nc_u32 v245, 0x144, v208
	s_delay_alu instid0(VALU_DEP_2) | instskip(SKIP_2) | instid1(VALU_DEP_4)
	v_mad_co_u64_u32 v[213:214], null, s16, v252, 0
	v_add_nc_u32_e32 v242, 0x21c, v241
	v_dual_mov_b32 v212, v178 :: v_dual_add_nc_u32 v253, 0x438, v252
	v_mul_hi_u32 v246, 0xf2b9d649, v245
	s_delay_alu instid0(VALU_DEP_3) | instskip(NEXT) | instid1(VALU_DEP_3)
	v_mad_co_u64_u32 v[230:231], null, s16, v242, 0
	v_mad_co_u64_u32 v[217:218], null, s16, v253, 0
	s_delay_alu instid0(VALU_DEP_4) | instskip(NEXT) | instid1(VALU_DEP_3)
	v_lshlrev_b64_e32 v[211:212], 4, v[211:212]
	v_mov_b32_e32 v179, v231
	s_delay_alu instid0(VALU_DEP_2) | instskip(SKIP_1) | instid1(VALU_DEP_3)
	v_add_co_u32 v211, vcc_lo, v188, v211
	s_wait_alu 0xfffd
	v_add_co_ci_u32_e32 v212, vcc_lo, v189, v212, vcc_lo
	v_fma_f64 v[40:41], v[40:41], v[182:183], v[215:216]
	v_mov_b32_e32 v182, v237
	v_mad_co_u64_u32 v[219:220], null, s17, v242, v[179:180]
	v_mad_co_u64_u32 v[220:221], null, s17, v247, v[186:187]
	v_dual_mov_b32 v179, v214 :: v_dual_add_nc_u32 v240, 0x21c, v252
	s_delay_alu instid0(VALU_DEP_3) | instskip(SKIP_1) | instid1(VALU_DEP_4)
	v_mov_b32_e32 v231, v219
	v_mad_co_u64_u32 v[186:187], null, s17, v248, v[187:188]
	v_mov_b32_e32 v233, v220
	s_delay_alu instid0(VALU_DEP_4)
	v_mad_co_u64_u32 v[215:216], null, s16, v240, 0
	v_add_nc_u32_e32 v254, 0x654, v252
	v_mad_co_u64_u32 v[178:179], null, s17, v252, v[179:180]
	v_add_nc_u32_e32 v251, 0xa8c, v241
	v_dual_mov_b32 v235, v186 :: v_dual_add_nc_u32 v190, 0xa8c, v252
	v_mov_b32_e32 v179, v216
	v_mad_co_u64_u32 v[221:222], null, s16, v254, 0
	v_mov_b32_e32 v214, v178
	v_mad_co_u64_u32 v[238:239], null, s16, v251, 0
	v_mad_co_u64_u32 v[226:227], null, s16, v190, 0
	v_lshlrev_b64_e32 v[230:231], 4, v[230:231]
	v_mov_b32_e32 v186, v222
	v_lshlrev_b64_e32 v[232:233], 4, v[232:233]
	v_lshlrev_b64_e32 v[234:235], 4, v[234:235]
	v_mov_b32_e32 v183, v239
	v_lshlrev_b64_e32 v[213:214], 4, v[213:214]
	v_mad_co_u64_u32 v[186:187], null, s17, v254, v[186:187]
	v_add_nc_u32_e32 v191, 0x21c, v250
	s_delay_alu instid0(VALU_DEP_4) | instskip(SKIP_1) | instid1(VALU_DEP_3)
	v_mad_co_u64_u32 v[223:224], null, s17, v249, v[182:183]
	v_mad_co_u64_u32 v[182:183], null, s17, v251, v[183:184]
	;; [unrolled: 1-line block ×3, first 2 shown]
	v_mov_b32_e32 v183, v218
	v_mad_co_u64_u32 v[218:219], null, s17, v240, v[179:180]
	v_mov_b32_e32 v179, v227
	v_mov_b32_e32 v237, v223
	v_mad_co_u64_u32 v[222:223], null, s17, v250, v[175:176]
	v_mov_b32_e32 v175, v229
	s_delay_alu instid0(VALU_DEP_4) | instskip(SKIP_2) | instid1(VALU_DEP_4)
	v_mad_co_u64_u32 v[178:179], null, s17, v190, v[179:180]
	v_add_nc_u32_e32 v190, 0x438, v250
	v_mov_b32_e32 v216, v218
	v_mad_co_u64_u32 v[240:241], null, s17, v191, v[175:176]
	v_add_nc_u32_e32 v191, 0x654, v250
	s_delay_alu instid0(VALU_DEP_4) | instskip(SKIP_1) | instid1(VALU_DEP_3)
	v_mad_co_u64_u32 v[241:242], null, s16, v190, 0
	v_dual_mov_b32 v175, v222 :: v_dual_mov_b32 v222, v186
	v_mad_co_u64_u32 v[186:187], null, s16, v191, 0
	v_mad_co_u64_u32 v[219:220], null, s17, v253, v[183:184]
	s_delay_alu instid0(VALU_DEP_4)
	v_mov_b32_e32 v179, v242
	v_lshrrev_b32_e32 v251, 9, v246
	v_mov_b32_e32 v227, v178
	v_add_nc_u32_e32 v255, 0x870, v252
	s_wait_loadcnt_dscnt 0x120b
	v_mul_f64_e32 v[248:249], v[134:135], v[166:167]
	v_mad_co_u64_u32 v[178:179], null, s17, v190, v[179:180]
	v_mov_b32_e32 v218, v219
	v_mul_u32_u24_e32 v223, 0x21c, v251
	v_mov_b32_e32 v179, v187
	v_mul_f64_e32 v[219:220], v[162:163], v[170:171]
	v_mul_f64_e32 v[170:171], v[160:161], v[170:171]
	v_mad_co_u64_u32 v[224:225], null, s16, v255, 0
	v_sub_nc_u32_e32 v190, v245, v223
	v_mad_co_u64_u32 v[245:246], null, s17, v191, v[179:180]
	v_mov_b32_e32 v242, v178
	v_mul_f64_e32 v[178:179], v[150:151], v[168:169]
	v_mul_f64_e32 v[168:169], v[148:149], v[168:169]
	v_add_co_u32 v230, vcc_lo, v188, v230
	v_mov_b32_e32 v239, v182
	s_wait_alu 0xfffd
	v_add_co_ci_u32_e32 v231, vcc_lo, v189, v231, vcc_lo
	v_dual_mov_b32 v229, v240 :: v_dual_add_nc_u32 v240, 0x870, v250
	v_lshlrev_b64_e32 v[236:237], 4, v[236:237]
	v_mov_b32_e32 v182, v225
	v_add_nc_u32_e32 v250, 0xa8c, v250
	v_lshlrev_b64_e32 v[238:239], 4, v[238:239]
	v_lshlrev_b64_e32 v[174:175], 4, v[174:175]
	;; [unrolled: 1-line block ×3, first 2 shown]
	v_mad_co_u64_u32 v[182:183], null, s17, v255, v[182:183]
	v_mad_co_u64_u32 v[246:247], null, s16, v240, 0
	v_mov_b32_e32 v187, v245
	s_delay_alu instid0(VALU_DEP_3)
	v_mov_b32_e32 v225, v182
	ds_load_b64 v[182:183], v243
	ds_load_b64 v[243:244], v244
	v_fma_f64 v[160:161], v[38:39], v[160:161], -v[219:220]
	v_fma_f64 v[38:39], v[38:39], v[162:163], v[170:171]
	v_mul_f64_e32 v[162:163], v[132:133], v[166:167]
	v_add_co_u32 v166, vcc_lo, v188, v232
	s_wait_alu 0xfffd
	v_add_co_ci_u32_e32 v167, vcc_lo, v189, v233, vcc_lo
	v_add_co_u32 v170, vcc_lo, v188, v234
	v_fma_f64 v[148:149], v[36:37], v[148:149], -v[178:179]
	v_fma_f64 v[36:37], v[36:37], v[150:151], v[168:169]
	s_wait_loadcnt_dscnt 0x1002
	v_mul_f64_e32 v[150:151], v[114:115], v[209:210]
	v_mul_f64_e32 v[168:169], v[112:113], v[209:210]
	s_wait_alu 0xfffd
	v_add_co_ci_u32_e32 v171, vcc_lo, v189, v235, vcc_lo
	v_add_co_u32 v232, vcc_lo, v188, v236
	s_wait_alu 0xfffd
	v_add_co_ci_u32_e32 v233, vcc_lo, v189, v237, vcc_lo
	v_add_co_u32 v234, vcc_lo, v188, v238
	;; [unrolled: 3-line block ×4, first 2 shown]
	s_wait_alu 0xfffd
	v_add_co_ci_u32_e32 v175, vcc_lo, v189, v175, vcc_lo
	v_fma_f64 v[132:133], v[34:35], v[132:133], -v[248:249]
	v_mul_f64_e32 v[219:220], v[122:123], v[164:165]
	v_mul_f64_e32 v[164:165], v[120:121], v[164:165]
	s_wait_loadcnt 0xf
	v_mul_f64_e32 v[178:179], v[110:111], v[128:129]
	v_mul_f64_e32 v[128:129], v[108:109], v[128:129]
	s_wait_loadcnt 0xe
	v_mul_f64_e32 v[209:210], v[106:107], v[124:125]
	v_mul_f64_e32 v[124:125], v[104:105], v[124:125]
	v_mad_co_u64_u32 v[236:237], null, s16, v250, 0
	v_fma_f64 v[34:35], v[34:35], v[134:135], v[162:163]
	v_add_co_u32 v134, vcc_lo, v188, v215
	s_wait_alu 0xfffd
	v_add_co_ci_u32_e32 v135, vcc_lo, v189, v216, vcc_lo
	v_lshlrev_b64_e32 v[215:216], 4, v[217:218]
	v_lshlrev_b64_e32 v[217:218], 4, v[221:222]
	;; [unrolled: 1-line block ×3, first 2 shown]
	s_wait_loadcnt 0x3
	v_mul_f64_e32 v[223:224], v[78:79], v[118:119]
	v_fma_f64 v[112:113], v[200:201], v[112:113], -v[150:151]
	v_fma_f64 v[114:115], v[200:201], v[114:115], v[168:169]
	v_mul_f64_e32 v[200:201], v[54:55], v[156:157]
	v_mul_f64_e32 v[156:157], v[52:53], v[156:157]
	v_add_co_u32 v163, vcc_lo, v188, v215
	v_mul_f64_e32 v[150:151], v[50:51], v[142:143]
	v_mul_f64_e32 v[142:143], v[48:49], v[142:143]
	;; [unrolled: 1-line block ×4, first 2 shown]
	v_mov_b32_e32 v162, v247
	v_fma_f64 v[120:121], v[32:33], v[120:121], -v[219:220]
	v_fma_f64 v[32:33], v[32:33], v[122:123], v[164:165]
	v_mul_f64_e32 v[122:123], v[102:103], v[154:155]
	v_mul_f64_e32 v[154:155], v[100:101], v[154:155]
	s_wait_alu 0xfffd
	v_add_co_ci_u32_e32 v164, vcc_lo, v189, v216, vcc_lo
	v_add_co_u32 v215, vcc_lo, v188, v217
	s_wait_alu 0xfffd
	v_add_co_ci_u32_e32 v216, vcc_lo, v189, v218, vcc_lo
	v_add_co_u32 v217, vcc_lo, v188, v221
	s_wait_alu 0xfffd
	v_add_co_ci_u32_e32 v218, vcc_lo, v189, v222, vcc_lo
	v_mul_f64_e32 v[219:220], v[74:75], v[158:159]
	v_mul_f64_e32 v[158:159], v[72:73], v[158:159]
	;; [unrolled: 1-line block ×3, first 2 shown]
	v_fma_f64 v[108:109], v[0:1], v[108:109], -v[178:179]
	v_fma_f64 v[0:1], v[0:1], v[110:111], v[128:129]
	v_fma_f64 v[52:53], v[12:13], v[52:53], -v[200:201]
	v_fma_f64 v[12:13], v[12:13], v[54:55], v[156:157]
	v_fma_f64 v[54:55], v[6:7], v[76:77], -v[223:224]
	scratch_load_b64 v[223:224], off, off th:TH_LOAD_LU ; 8-byte Folded Reload
	v_mul_f64_e32 v[110:111], v[92:93], v[144:145]
	v_mul_f64_e32 v[128:129], v[96:97], v[136:137]
	v_fma_f64 v[104:105], v[8:9], v[104:105], -v[209:210]
	v_fma_f64 v[8:9], v[8:9], v[106:107], v[124:125]
	v_mul_f64_e32 v[106:107], v[98:99], v[136:137]
	v_mul_f64_e32 v[124:125], v[70:71], v[140:141]
	;; [unrolled: 1-line block ×7, first 2 shown]
	v_lshlrev_b64_e32 v[178:179], 4, v[226:227]
	s_wait_loadcnt 0x1
	v_mul_f64_e32 v[225:226], v[58:59], v[116:117]
	v_mul_f64_e32 v[116:117], v[56:57], v[116:117]
	v_fma_f64 v[48:49], v[22:23], v[48:49], -v[150:151]
	v_fma_f64 v[22:23], v[22:23], v[50:51], v[142:143]
	v_fma_f64 v[50:51], v[28:29], v[80:81], -v[168:169]
	v_fma_f64 v[100:101], v[30:31], v[100:101], -v[122:123]
	v_fma_f64 v[30:31], v[30:31], v[102:103], v[154:155]
	v_mul_f64_e32 v[102:103], v[76:77], v[118:119]
	v_mul_f64_e32 v[118:119], v[66:67], v[130:131]
	;; [unrolled: 1-line block ×4, first 2 shown]
	v_fma_f64 v[28:29], v[28:29], v[82:83], v[152:153]
	v_mul_f64_e32 v[126:127], v[60:61], v[126:127]
	v_add_f64_e64 v[76:77], v[176:177], -v[184:185]
	v_add_f64_e64 v[142:143], v[36:37], -v[32:33]
	v_add_co_u32 v178, vcc_lo, v188, v178
	v_fma_f64 v[72:73], v[14:15], v[72:73], -v[219:220]
	v_fma_f64 v[14:15], v[14:15], v[74:75], v[158:159]
	v_lshlrev_b64_e32 v[209:210], 4, v[228:229]
	s_wait_alu 0xfffd
	v_add_co_ci_u32_e32 v179, vcc_lo, v189, v179, vcc_lo
	v_lshlrev_b64_e32 v[154:155], 4, v[241:242]
	s_delay_alu instid0(VALU_DEP_3)
	v_add_co_u32 v209, vcc_lo, v188, v209
	v_fma_f64 v[74:75], v[16:17], v[94:95], v[110:111]
	v_fma_f64 v[94:95], v[24:25], v[98:99], v[128:129]
	v_fma_f64 v[16:17], v[16:17], v[92:93], -v[221:222]
	v_fma_f64 v[24:25], v[24:25], v[96:97], -v[106:107]
	;; [unrolled: 1-line block ×3, first 2 shown]
	v_fma_f64 v[20:21], v[20:21], v[70:71], v[136:137]
	v_fma_f64 v[80:81], v[18:19], v[84:85], -v[140:141]
	v_fma_f64 v[18:19], v[18:19], v[86:87], v[144:145]
	v_fma_f64 v[82:83], v[26:27], v[88:89], -v[146:147]
	v_fma_f64 v[26:27], v[26:27], v[90:91], v[138:139]
	v_add_f64_e64 v[70:71], v[46:47], -v[42:43]
	v_fma_f64 v[56:57], v[4:5], v[56:57], -v[225:226]
	v_fma_f64 v[4:5], v[4:5], v[58:59], v[116:117]
	v_add_f64_e32 v[98:99], v[160:161], v[132:133]
	v_add_f64_e32 v[84:85], v[0:1], v[206:207]
	;; [unrolled: 1-line block ×5, first 2 shown]
	v_fma_f64 v[6:7], v[6:7], v[78:79], v[102:103]
	v_fma_f64 v[64:65], v[2:3], v[64:65], -v[118:119]
	v_fma_f64 v[2:3], v[2:3], v[66:67], v[122:123]
	v_add_f64_e32 v[66:67], v[176:177], v[184:185]
	v_add_f64_e32 v[78:79], v[46:47], v[42:43]
	;; [unrolled: 1-line block ×3, first 2 shown]
	v_fma_f64 v[60:61], v[10:11], v[60:61], -v[130:131]
	v_fma_f64 v[10:11], v[10:11], v[62:63], v[126:127]
	v_add_f64_e32 v[62:63], v[0:1], v[8:9]
	v_add_f64_e32 v[90:91], v[112:113], v[176:177]
	v_add_f64_e64 v[102:103], v[38:39], -v[34:35]
	v_add_f64_e32 v[38:39], v[30:31], v[38:39]
	v_add_f64_e32 v[140:141], v[148:149], v[120:121]
	;; [unrolled: 1-line block ×4, first 2 shown]
	v_add_f64_e64 v[58:59], v[108:109], -v[104:105]
	v_add_f64_e64 v[92:93], v[172:173], -v[180:181]
	;; [unrolled: 1-line block ×3, first 2 shown]
	s_wait_dscnt 0x1
	v_add_f64_e32 v[118:119], v[44:45], v[182:183]
	v_add_f64_e32 v[122:123], v[172:173], v[180:181]
	;; [unrolled: 1-line block ×4, first 2 shown]
	v_add_f64_e64 v[200:201], v[74:75], -v[94:95]
	v_add_f64_e32 v[110:111], v[16:17], v[24:25]
	v_add_f64_e64 v[176:177], v[16:17], -v[24:25]
	v_add_f64_e64 v[136:137], v[72:73], -v[48:49]
	v_add_f64_e32 v[138:139], v[14:15], v[22:23]
	v_add_f64_e64 v[144:145], v[148:149], -v[120:121]
	v_add_f64_e32 v[128:129], v[80:81], v[82:83]
	v_add_f64_e32 v[130:131], v[18:19], v[26:27]
	s_wait_dscnt 0x0
	v_add_f64_e32 v[150:151], v[14:15], v[243:244]
	v_add_f64_e32 v[152:153], v[72:73], v[48:49]
	v_add_f64_e64 v[156:157], v[14:15], -v[22:23]
	v_add_f64_e32 v[14:15], v[196:197], v[72:73]
	v_add_f64_e32 v[72:73], v[50:51], v[148:149]
	v_add_f64_e64 v[148:149], v[52:53], -v[68:69]
	v_add_f64_e32 v[158:159], v[12:13], v[20:21]
	v_add_f64_e64 v[160:161], v[18:19], -v[26:27]
	v_add_f64_e64 v[168:169], v[80:81], -v[82:83]
	v_add_f64_e32 v[172:173], v[12:13], v[204:205]
	v_add_f64_e32 v[18:19], v[6:7], v[18:19]
	v_fma_f64 v[66:67], v[66:67], -0.5, v[112:113]
	v_fma_f64 v[78:79], v[78:79], -0.5, v[114:115]
	v_add_f64_e32 v[42:43], v[46:47], v[42:43]
	v_fma_f64 v[46:47], v[98:99], -0.5, v[100:101]
	v_add_f64_e32 v[112:113], v[52:53], v[68:69]
	v_add_f64_e64 v[114:115], v[12:13], -v[20:21]
	v_add_f64_e32 v[12:13], v[194:195], v[52:53]
	v_add_f64_e32 v[52:53], v[54:55], v[80:81]
	v_add_f64_e64 v[0:1], v[0:1], -v[8:9]
	v_fma_f64 v[62:63], v[62:63], -0.5, v[206:207]
	v_add_f64_e32 v[8:9], v[8:9], v[84:85]
	v_add_f64_e32 v[84:85], v[88:89], v[104:105]
	;; [unrolled: 1-line block ×4, first 2 shown]
	v_fma_f64 v[30:31], v[116:117], -0.5, v[30:31]
	v_add_f64_e32 v[36:37], v[28:29], v[36:37]
	v_fma_f64 v[28:29], v[146:147], -0.5, v[28:29]
	v_add_f64_e32 v[219:220], v[64:65], v[60:61]
	;; [unrolled: 2-line block ×4, first 2 shown]
	v_add_f64_e32 v[56:57], v[2:3], v[202:203]
	v_add_f64_e64 v[221:222], v[2:3], -v[10:11]
	v_add_f64_e32 v[34:35], v[38:39], v[34:35]
	v_fma_f64 v[54:55], v[128:129], -0.5, v[54:55]
	v_fma_f64 v[6:7], v[130:131], -0.5, v[6:7]
	;; [unrolled: 1-line block ×3, first 2 shown]
	v_add_f64_e64 v[80:81], v[64:65], -v[60:61]
	v_add_f64_e64 v[44:45], v[44:45], -v[40:41]
	v_add_f64_e32 v[40:41], v[40:41], v[118:119]
	v_add_f64_e32 v[72:73], v[72:73], v[120:121]
	v_fma_f64 v[98:99], v[138:139], -0.5, v[243:244]
	v_fma_f64 v[50:51], v[122:123], -0.5, v[198:199]
	v_add_f64_e32 v[22:23], v[22:23], v[150:151]
	v_add_f64_e32 v[48:49], v[14:15], v[48:49]
	;; [unrolled: 1-line block ×4, first 2 shown]
	v_fma_f64 v[104:105], v[70:71], s[2:3], v[66:67]
	v_fma_f64 v[66:67], v[70:71], s[4:5], v[66:67]
	;; [unrolled: 1-line block ×4, first 2 shown]
	v_fma_f64 v[20:21], v[112:113], -0.5, v[194:195]
	v_fma_f64 v[78:79], v[158:159], -0.5, v[204:205]
	v_add_f64_e32 v[112:113], v[12:13], v[68:69]
	v_add_f64_e32 v[82:83], v[52:53], v[82:83]
	s_wait_alu 0xfffd
	v_add_co_ci_u32_e32 v210, vcc_lo, v189, v210, vcc_lo
	v_fma_f64 v[128:129], v[58:59], s[2:3], v[62:63]
	v_fma_f64 v[58:59], v[58:59], s[4:5], v[62:63]
	v_fma_f64 v[88:89], v[96:97], -0.5, v[182:183]
	v_add_f64_e32 v[24:25], v[16:17], v[24:25]
	v_fma_f64 v[122:123], v[108:109], s[2:3], v[30:31]
	v_fma_f64 v[30:31], v[108:109], s[4:5], v[30:31]
	;; [unrolled: 1-line block ×3, first 2 shown]
	v_add_f64_e32 v[96:97], v[126:127], v[132:133]
	v_fma_f64 v[76:77], v[176:177], s[2:3], v[106:107]
	v_fma_f64 v[106:107], v[176:177], s[4:5], v[106:107]
	;; [unrolled: 1-line block ×4, first 2 shown]
	v_fma_f64 v[74:75], v[74:75], -0.5, v[202:203]
	v_fma_f64 v[28:29], v[144:145], s[4:5], v[28:29]
	v_add_f64_e32 v[32:33], v[36:37], v[32:33]
	v_fma_f64 v[26:27], v[160:161], s[2:3], v[54:55]
	v_fma_f64 v[52:53], v[168:169], s[4:5], v[6:7]
	;; [unrolled: 1-line block ×6, first 2 shown]
	v_add_f64_e32 v[6:7], v[8:9], v[42:43]
	v_fma_f64 v[36:37], v[152:153], -0.5, v[196:197]
	v_add_f64_e32 v[94:95], v[4:5], v[94:95]
	v_fma_f64 v[158:159], v[44:45], s[2:3], v[50:51]
	v_add_f64_e32 v[56:57], v[10:11], v[56:57]
	v_add_f64_e64 v[10:11], v[40:41], -v[34:35]
	v_add_f64_e32 v[14:15], v[40:41], v[34:35]
	v_mul_f64_e32 v[62:63], s[4:5], v[104:105]
	v_mul_f64_e32 v[130:131], -0.5, v[66:67]
	v_mul_f64_e32 v[138:139], s[2:3], v[70:71]
	v_mul_f64_e32 v[16:17], -0.5, v[100:101]
	v_fma_f64 v[172:173], v[136:137], s[2:3], v[98:99]
	v_fma_f64 v[136:137], v[136:137], s[4:5], v[98:99]
	v_add_co_u32 v154, vcc_lo, v188, v154
	s_wait_alu 0xfffd
	v_add_co_ci_u32_e32 v155, vcc_lo, v189, v155, vcc_lo
	v_mul_f64_e32 v[168:169], s[2:3], v[30:31]
	v_mul_f64_e32 v[40:41], -0.5, v[108:109]
	v_mul_f64_e32 v[140:141], -0.5, v[76:77]
	v_mul_f64_e32 v[142:143], s[2:3], v[106:107]
	v_mul_f64_e32 v[144:145], -0.5, v[110:111]
	v_fma_f64 v[98:99], v[80:81], s[2:3], v[74:75]
	v_fma_f64 v[74:75], v[80:81], s[4:5], v[74:75]
	v_mul_f64_e32 v[176:177], s[2:3], v[28:29]
	v_add_f64_e64 v[18:19], v[22:23], -v[32:33]
	v_mul_f64_e32 v[146:147], s[2:3], v[52:53]
	v_mul_f64_e32 v[150:151], -0.5, v[68:69]
	v_mul_f64_e32 v[152:153], -0.5, v[54:55]
	v_add_f64_e32 v[22:23], v[22:23], v[32:33]
	v_add_f64_e64 v[34:35], v[56:57], -v[94:95]
	v_fma_f64 v[62:63], v[70:71], 0.5, v[62:63]
	v_fma_f64 v[70:71], v[100:101], s[2:3], v[130:131]
	v_fma_f64 v[100:101], v[104:105], 0.5, v[138:139]
	v_fma_f64 v[66:67], v[66:67], s[4:5], v[16:17]
	v_fma_f64 v[138:139], v[148:149], s[4:5], v[78:79]
	v_add_f64_e64 v[16:17], v[48:49], -v[72:73]
	v_fma_f64 v[130:131], v[156:157], s[2:3], v[36:37]
	v_fma_f64 v[104:105], v[110:111], s[4:5], v[140:141]
	v_fma_f64 v[110:111], v[116:117], 0.5, v[142:143]
	v_fma_f64 v[140:141], v[114:115], s[4:5], v[20:21]
	v_fma_f64 v[76:77], v[76:77], s[2:3], v[144:145]
	;; [unrolled: 1-line block ×3, first 2 shown]
	v_add_f64_e32 v[20:21], v[48:49], v[72:73]
	v_fma_f64 v[144:145], v[26:27], 0.5, v[146:147]
	v_fma_f64 v[146:147], v[54:55], s[4:5], v[150:151]
	v_add_f64_e32 v[54:55], v[58:59], v[62:63]
	s_delay_alu instid0(VALU_DEP_3)
	v_add_f64_e32 v[72:73], v[142:143], v[144:145]
	s_wait_loadcnt 0x0
	v_add_f64_e32 v[2:3], v[223:224], v[64:65]
	v_fma_f64 v[64:65], v[86:87], -0.5, v[192:193]
	v_add_f64_e32 v[86:87], v[90:91], v[184:185]
	v_add_f64_e32 v[90:91], v[124:125], v[180:181]
	v_fma_f64 v[124:125], v[102:103], s[2:3], v[46:47]
	v_fma_f64 v[46:47], v[102:103], s[4:5], v[46:47]
	v_fma_f64 v[102:103], v[219:220], -0.5, v[223:224]
	v_fma_f64 v[180:181], v[156:157], s[4:5], v[36:37]
	v_add_f64_e32 v[60:61], v[2:3], v[60:61]
	v_add_f64_e64 v[2:3], v[8:9], -v[42:43]
	v_mul_f64_e32 v[42:43], s[4:5], v[116:117]
	v_fma_f64 v[132:133], v[0:1], s[4:5], v[64:65]
	v_fma_f64 v[64:65], v[0:1], s[2:3], v[64:65]
	v_mul_f64_e32 v[160:161], -0.5, v[46:47]
	v_add_f64_e64 v[0:1], v[84:85], -v[86:87]
	v_add_f64_e32 v[4:5], v[84:85], v[86:87]
	v_mul_f64_e32 v[86:87], s[4:5], v[26:27]
	v_fma_f64 v[84:85], v[92:93], s[2:3], v[88:89]
	v_fma_f64 v[88:89], v[92:93], s[4:5], v[88:89]
	;; [unrolled: 1-line block ×3, first 2 shown]
	v_mul_f64_e32 v[50:51], s[4:5], v[124:125]
	v_mul_f64_e32 v[44:45], -0.5, v[122:123]
	v_fma_f64 v[80:81], v[221:222], s[4:5], v[102:103]
	v_fma_f64 v[102:103], v[221:222], s[2:3], v[102:103]
	v_add_f64_e64 v[8:9], v[90:91], -v[96:97]
	v_add_f64_e32 v[12:13], v[90:91], v[96:97]
	v_mul_f64_e32 v[96:97], -0.5, v[38:39]
	v_mul_f64_e32 v[90:91], s[4:5], v[126:127]
	v_fma_f64 v[116:117], v[148:149], s[2:3], v[78:79]
	v_fma_f64 v[148:149], v[68:69], s[2:3], v[152:153]
	v_add_f64_e64 v[26:27], v[118:119], -v[120:121]
	v_fma_f64 v[126:127], v[126:127], 0.5, v[176:177]
	v_fma_f64 v[124:125], v[124:125], 0.5, v[168:169]
	v_add_f64_e32 v[36:37], v[60:61], v[24:25]
	v_add_f64_e64 v[32:33], v[60:61], -v[24:25]
	v_fma_f64 v[106:107], v[106:107], 0.5, v[42:43]
	v_add_f64_e32 v[48:49], v[132:133], v[70:71]
	v_add_f64_e64 v[42:43], v[128:129], -v[66:67]
	v_fma_f64 v[122:123], v[122:123], s[2:3], v[160:161]
	v_add_f64_e64 v[24:25], v[112:113], -v[82:83]
	global_store_b128 v[211:212], v[4:7], off
	v_fma_f64 v[114:115], v[52:53], 0.5, v[86:87]
	v_add_f64_e32 v[52:53], v[64:65], v[100:101]
	v_fma_f64 v[150:151], v[30:31], 0.5, v[50:51]
	v_add_f64_e32 v[50:51], v[128:129], v[66:67]
	v_fma_f64 v[86:87], v[46:47], s[4:5], v[44:45]
	v_add_f64_e64 v[46:47], v[58:59], -v[62:63]
	v_add_f64_e64 v[44:45], v[64:65], -v[100:101]
	v_add_f64_e32 v[30:31], v[118:119], v[120:121]
	v_fma_f64 v[118:119], v[38:39], s[4:5], v[40:41]
	v_add_f64_e64 v[40:41], v[132:133], -v[70:71]
	v_add_f64_e32 v[38:39], v[56:57], v[94:95]
	v_add_f64_e32 v[64:65], v[102:103], v[110:111]
	;; [unrolled: 1-line block ×4, first 2 shown]
	v_fma_f64 v[108:109], v[108:109], s[2:3], v[96:97]
	v_add_f64_e64 v[68:69], v[102:103], -v[110:111]
	v_add_f64_e64 v[58:59], v[98:99], -v[104:105]
	;; [unrolled: 1-line block ×3, first 2 shown]
	v_fma_f64 v[120:121], v[28:29], 0.5, v[90:91]
	v_add_f64_e32 v[28:29], v[112:113], v[82:83]
	v_add_f64_e32 v[78:79], v[116:117], v[146:147]
	;; [unrolled: 1-line block ×3, first 2 shown]
	v_add_f64_e64 v[110:111], v[116:117], -v[146:147]
	v_add_f64_e64 v[112:113], v[142:143], -v[144:145]
	v_add_f64_e32 v[104:105], v[130:131], v[126:127]
	v_add_f64_e64 v[96:97], v[130:131], -v[126:127]
	v_add_f64_e64 v[80:81], v[158:159], -v[124:125]
	v_add_f64_e32 v[66:67], v[74:75], v[106:107]
	v_add_f64_e64 v[70:71], v[74:75], -v[106:107]
	s_clause 0xb
	global_store_b128 v[230:231], v[52:55], off
	global_store_b128 v[166:167], v[48:51], off
	;; [unrolled: 1-line block ×12, first 2 shown]
	v_add_f64_e64 v[4:5], v[92:93], -v[122:123]
	v_add_f64_e32 v[74:75], v[138:139], v[114:115]
	v_mad_co_u64_u32 v[0:1], null, s17, v240, v[162:163]
	v_mad_u32_u24 v35, 0xca8, v251, v190
	v_lshlrev_b64_e32 v[1:2], 4, v[186:187]
	v_mov_b32_e32 v3, v237
	v_add_f64_e64 v[6:7], v[84:85], -v[86:87]
	v_add_f64_e32 v[86:87], v[84:85], v[86:87]
	v_mad_co_u64_u32 v[28:29], null, s16, v35, 0
	v_mov_b32_e32 v247, v0
	v_add_f64_e32 v[84:85], v[92:93], v[122:123]
	v_add_f64_e64 v[92:93], v[180:181], -v[108:109]
	v_add_f64_e32 v[100:101], v[180:181], v[108:109]
	v_add_f64_e64 v[114:115], v[138:139], -v[114:115]
	v_add_f64_e64 v[108:109], v[140:141], -v[148:149]
	v_add_co_u32 v0, vcc_lo, v188, v1
	s_wait_alu 0xfffd
	v_add_co_ci_u32_e32 v1, vcc_lo, v189, v2, vcc_lo
	v_mov_b32_e32 v2, v29
	v_add_nc_u32_e32 v36, 0x21c, v35
	v_add_f64_e32 v[106:107], v[136:137], v[120:121]
	v_add_f64_e32 v[102:103], v[172:173], v[118:119]
	v_add_f64_e64 v[98:99], v[136:137], -v[120:121]
	v_add_f64_e64 v[94:95], v[172:173], -v[118:119]
	v_mad_co_u64_u32 v[33:34], null, s16, v36, 0
	v_add_f64_e64 v[82:83], v[88:89], -v[150:151]
	v_add_f64_e32 v[90:91], v[88:89], v[150:151]
	v_add_f64_e32 v[88:89], v[158:159], v[124:125]
	v_mad_co_u64_u32 v[30:31], null, s17, v250, v[3:4]
	v_lshlrev_b64_e32 v[31:32], 4, v[246:247]
	s_clause 0x2
	global_store_b128 v[209:210], v[72:75], off
	global_store_b128 v[154:155], v[76:79], off
	;; [unrolled: 1-line block ×3, first 2 shown]
	v_add_co_u32 v24, vcc_lo, v188, v31
	s_wait_alu 0xfffd
	v_add_co_ci_u32_e32 v25, vcc_lo, v189, v32, vcc_lo
	v_add_nc_u32_e32 v32, 0xa8c, v35
	v_mad_co_u64_u32 v[2:3], null, s17, v35, v[2:3]
	v_dual_mov_b32 v237, v30 :: v_dual_add_nc_u32 v30, 0x438, v35
	global_store_b128 v[24:25], v[112:115], off
	v_add_nc_u32_e32 v31, 0x870, v35
	v_lshlrev_b64_e32 v[0:1], 4, v[236:237]
	v_dual_mov_b32 v29, v2 :: v_dual_mov_b32 v2, v34
	s_delay_alu instid0(VALU_DEP_2) | instskip(NEXT) | instid1(VALU_DEP_2)
	v_add_co_u32 v0, vcc_lo, v188, v0
	v_mad_co_u64_u32 v[2:3], null, s17, v36, v[2:3]
	s_delay_alu instid0(VALU_DEP_3) | instskip(SKIP_3) | instid1(VALU_DEP_4)
	v_lshlrev_b64_e32 v[26:27], 4, v[28:29]
	v_mad_co_u64_u32 v[28:29], null, s16, v30, 0
	s_wait_alu 0xfffd
	v_add_co_ci_u32_e32 v1, vcc_lo, v189, v1, vcc_lo
	v_dual_mov_b32 v34, v2 :: v_dual_add_nc_u32 v3, 0x654, v35
	s_delay_alu instid0(VALU_DEP_4)
	v_add_co_u32 v26, vcc_lo, v188, v26
	global_store_b128 v[0:1], v[108:111], off
	s_wait_alu 0xfffd
	v_add_co_ci_u32_e32 v27, vcc_lo, v189, v27, vcc_lo
	v_lshlrev_b64_e32 v[1:2], 4, v[33:34]
	v_mov_b32_e32 v0, v29
	global_store_b128 v[26:27], v[20:23], off
	v_mad_co_u64_u32 v[23:24], null, s16, v31, 0
	v_mad_co_u64_u32 v[20:21], null, s17, v30, v[0:1]
	v_add_nc_u32_e32 v30, 0x1b0, v208
	v_mad_co_u64_u32 v[21:22], null, s16, v3, 0
	v_add_co_u32 v0, vcc_lo, v188, v1
	s_delay_alu instid0(VALU_DEP_3) | instskip(SKIP_2) | instid1(VALU_DEP_4)
	v_mul_hi_u32 v25, 0xf2b9d649, v30
	s_wait_alu 0xfffd
	v_add_co_ci_u32_e32 v1, vcc_lo, v189, v2, vcc_lo
	v_dual_mov_b32 v29, v20 :: v_dual_mov_b32 v2, v22
	global_store_b128 v[0:1], v[104:107], off
	v_mov_b32_e32 v0, v24
	v_lshrrev_b32_e32 v20, 9, v25
	v_mad_co_u64_u32 v[2:3], null, s17, v3, v[2:3]
	v_mad_co_u64_u32 v[25:26], null, s16, v32, 0
	s_delay_alu instid0(VALU_DEP_3) | instskip(SKIP_3) | instid1(VALU_DEP_4)
	v_mul_u32_u24_e32 v3, 0x21c, v20
	v_lshlrev_b64_e32 v[27:28], 4, v[28:29]
	v_mad_co_u64_u32 v[0:1], null, s17, v31, v[0:1]
	v_mov_b32_e32 v22, v2
	v_sub_nc_u32_e32 v24, v30, v3
	s_delay_alu instid0(VALU_DEP_4) | instskip(SKIP_2) | instid1(VALU_DEP_3)
	v_add_co_u32 v2, vcc_lo, v188, v27
	s_wait_alu 0xfffd
	v_add_co_ci_u32_e32 v3, vcc_lo, v189, v28, vcc_lo
	v_mad_u32_u24 v29, 0xca8, v20, v24
	v_mov_b32_e32 v1, v26
	v_lshlrev_b64_e32 v[20:21], 4, v[21:22]
	v_mov_b32_e32 v24, v0
	global_store_b128 v[2:3], v[100:103], off
	v_mad_co_u64_u32 v[26:27], null, s17, v32, v[1:2]
	v_mad_co_u64_u32 v[27:28], null, s16, v29, 0
	v_add_co_u32 v0, vcc_lo, v188, v20
	s_wait_alu 0xfffd
	v_add_co_ci_u32_e32 v1, vcc_lo, v189, v21, vcc_lo
	v_lshlrev_b64_e32 v[20:21], 4, v[23:24]
	s_delay_alu instid0(VALU_DEP_4)
	v_mov_b32_e32 v2, v28
	global_store_b128 v[0:1], v[16:19], off
	v_lshlrev_b64_e32 v[0:1], 4, v[25:26]
	v_add_co_u32 v16, vcc_lo, v188, v20
	v_add_nc_u32_e32 v20, 0x21c, v29
	v_mad_co_u64_u32 v[2:3], null, s17, v29, v[2:3]
	s_wait_alu 0xfffd
	v_add_co_ci_u32_e32 v17, vcc_lo, v189, v21, vcc_lo
	v_add_co_u32 v0, vcc_lo, v188, v0
	s_wait_alu 0xfffd
	v_add_co_ci_u32_e32 v1, vcc_lo, v189, v1, vcc_lo
	s_delay_alu instid0(VALU_DEP_4)
	v_mov_b32_e32 v28, v2
	v_mad_co_u64_u32 v[2:3], null, s16, v20, 0
	s_clause 0x1
	global_store_b128 v[16:17], v[96:99], off
	global_store_b128 v[0:1], v[92:95], off
	v_lshlrev_b64_e32 v[0:1], 4, v[27:28]
	v_mad_co_u64_u32 v[20:21], null, s17, v20, v[3:4]
	v_add_nc_u32_e32 v24, 0x654, v29
	s_delay_alu instid0(VALU_DEP_3) | instskip(SKIP_1) | instid1(VALU_DEP_4)
	v_add_co_u32 v0, vcc_lo, v188, v0
	s_wait_alu 0xfffd
	v_add_co_ci_u32_e32 v1, vcc_lo, v189, v1, vcc_lo
	s_delay_alu instid0(VALU_DEP_3) | instskip(SKIP_4) | instid1(VALU_DEP_2)
	v_mad_co_u64_u32 v[18:19], null, s16, v24, 0
	v_add_nc_u32_e32 v22, 0x438, v29
	global_store_b128 v[0:1], v[12:15], off
	v_mov_b32_e32 v3, v19
	v_mad_co_u64_u32 v[16:17], null, s16, v22, 0
	v_mad_co_u64_u32 v[24:25], null, s17, v24, v[3:4]
	v_mov_b32_e32 v3, v20
	s_delay_alu instid0(VALU_DEP_3) | instskip(SKIP_1) | instid1(VALU_DEP_3)
	v_mad_co_u64_u32 v[21:22], null, s17, v22, v[17:18]
	v_add_nc_u32_e32 v28, 0xa8c, v29
	v_lshlrev_b64_e32 v[1:2], 4, v[2:3]
	s_delay_alu instid0(VALU_DEP_3) | instskip(NEXT) | instid1(VALU_DEP_3)
	v_mov_b32_e32 v17, v21
	v_mad_co_u64_u32 v[25:26], null, s16, v28, 0
	v_add_nc_u32_e32 v27, 0x870, v29
	s_delay_alu instid0(VALU_DEP_1) | instskip(NEXT) | instid1(VALU_DEP_1)
	v_mad_co_u64_u32 v[22:23], null, s16, v27, 0
	v_mov_b32_e32 v0, v23
	s_delay_alu instid0(VALU_DEP_1)
	v_mad_co_u64_u32 v[12:13], null, s17, v27, v[0:1]
	v_mov_b32_e32 v0, v26
	v_add_co_u32 v1, vcc_lo, v188, v1
	v_lshlrev_b64_e32 v[13:14], 4, v[16:17]
	s_wait_alu 0xfffd
	v_add_co_ci_u32_e32 v2, vcc_lo, v189, v2, vcc_lo
	s_delay_alu instid0(VALU_DEP_3)
	v_mad_co_u64_u32 v[15:16], null, s17, v28, v[0:1]
	v_mov_b32_e32 v19, v24
	v_mov_b32_e32 v23, v12
	v_add_co_u32 v12, vcc_lo, v188, v13
	s_wait_alu 0xfffd
	v_add_co_ci_u32_e32 v13, vcc_lo, v189, v14, vcc_lo
	v_mov_b32_e32 v26, v15
	v_lshlrev_b64_e32 v[16:17], 4, v[18:19]
	v_lshlrev_b64_e32 v[18:19], 4, v[22:23]
	s_delay_alu instid0(VALU_DEP_2) | instskip(SKIP_1) | instid1(VALU_DEP_3)
	v_add_co_u32 v14, vcc_lo, v188, v16
	s_wait_alu 0xfffd
	v_add_co_ci_u32_e32 v15, vcc_lo, v189, v17, vcc_lo
	v_lshlrev_b64_e32 v[16:17], 4, v[25:26]
	s_delay_alu instid0(VALU_DEP_4) | instskip(SKIP_2) | instid1(VALU_DEP_3)
	v_add_co_u32 v18, vcc_lo, v188, v18
	s_wait_alu 0xfffd
	v_add_co_ci_u32_e32 v19, vcc_lo, v189, v19, vcc_lo
	v_add_co_u32 v16, vcc_lo, v188, v16
	s_wait_alu 0xfffd
	v_add_co_ci_u32_e32 v17, vcc_lo, v189, v17, vcc_lo
	s_clause 0x4
	global_store_b128 v[1:2], v[88:91], off
	global_store_b128 v[12:13], v[84:87], off
	;; [unrolled: 1-line block ×5, first 2 shown]
.LBB0_15:
	s_endpgm
	.section	.rodata,"a",@progbits
	.p2align	6, 0x0
	.amdhsa_kernel fft_rtc_fwd_len3240_factors_3_3_10_6_6_wgs_108_tpt_108_halfLds_dp_op_CI_CI_sbrr_dirReg
		.amdhsa_group_segment_fixed_size 0
		.amdhsa_private_segment_fixed_size 12
		.amdhsa_kernarg_size 104
		.amdhsa_user_sgpr_count 2
		.amdhsa_user_sgpr_dispatch_ptr 0
		.amdhsa_user_sgpr_queue_ptr 0
		.amdhsa_user_sgpr_kernarg_segment_ptr 1
		.amdhsa_user_sgpr_dispatch_id 0
		.amdhsa_user_sgpr_private_segment_size 0
		.amdhsa_wavefront_size32 1
		.amdhsa_uses_dynamic_stack 0
		.amdhsa_enable_private_segment 1
		.amdhsa_system_sgpr_workgroup_id_x 1
		.amdhsa_system_sgpr_workgroup_id_y 0
		.amdhsa_system_sgpr_workgroup_id_z 0
		.amdhsa_system_sgpr_workgroup_info 0
		.amdhsa_system_vgpr_workitem_id 0
		.amdhsa_next_free_vgpr 256
		.amdhsa_next_free_sgpr 43
		.amdhsa_reserve_vcc 1
		.amdhsa_float_round_mode_32 0
		.amdhsa_float_round_mode_16_64 0
		.amdhsa_float_denorm_mode_32 3
		.amdhsa_float_denorm_mode_16_64 3
		.amdhsa_fp16_overflow 0
		.amdhsa_workgroup_processor_mode 1
		.amdhsa_memory_ordered 1
		.amdhsa_forward_progress 0
		.amdhsa_round_robin_scheduling 0
		.amdhsa_exception_fp_ieee_invalid_op 0
		.amdhsa_exception_fp_denorm_src 0
		.amdhsa_exception_fp_ieee_div_zero 0
		.amdhsa_exception_fp_ieee_overflow 0
		.amdhsa_exception_fp_ieee_underflow 0
		.amdhsa_exception_fp_ieee_inexact 0
		.amdhsa_exception_int_div_zero 0
	.end_amdhsa_kernel
	.text
.Lfunc_end0:
	.size	fft_rtc_fwd_len3240_factors_3_3_10_6_6_wgs_108_tpt_108_halfLds_dp_op_CI_CI_sbrr_dirReg, .Lfunc_end0-fft_rtc_fwd_len3240_factors_3_3_10_6_6_wgs_108_tpt_108_halfLds_dp_op_CI_CI_sbrr_dirReg
                                        ; -- End function
	.section	.AMDGPU.csdata,"",@progbits
; Kernel info:
; codeLenInByte = 22504
; NumSgprs: 45
; NumVgprs: 256
; ScratchSize: 12
; MemoryBound: 1
; FloatMode: 240
; IeeeMode: 1
; LDSByteSize: 0 bytes/workgroup (compile time only)
; SGPRBlocks: 5
; VGPRBlocks: 31
; NumSGPRsForWavesPerEU: 45
; NumVGPRsForWavesPerEU: 256
; Occupancy: 5
; WaveLimiterHint : 1
; COMPUTE_PGM_RSRC2:SCRATCH_EN: 1
; COMPUTE_PGM_RSRC2:USER_SGPR: 2
; COMPUTE_PGM_RSRC2:TRAP_HANDLER: 0
; COMPUTE_PGM_RSRC2:TGID_X_EN: 1
; COMPUTE_PGM_RSRC2:TGID_Y_EN: 0
; COMPUTE_PGM_RSRC2:TGID_Z_EN: 0
; COMPUTE_PGM_RSRC2:TIDIG_COMP_CNT: 0
	.text
	.p2alignl 7, 3214868480
	.fill 96, 4, 3214868480
	.type	__hip_cuid_e2cabb2ba9b31990,@object ; @__hip_cuid_e2cabb2ba9b31990
	.section	.bss,"aw",@nobits
	.globl	__hip_cuid_e2cabb2ba9b31990
__hip_cuid_e2cabb2ba9b31990:
	.byte	0                               ; 0x0
	.size	__hip_cuid_e2cabb2ba9b31990, 1

	.ident	"AMD clang version 19.0.0git (https://github.com/RadeonOpenCompute/llvm-project roc-6.4.0 25133 c7fe45cf4b819c5991fe208aaa96edf142730f1d)"
	.section	".note.GNU-stack","",@progbits
	.addrsig
	.addrsig_sym __hip_cuid_e2cabb2ba9b31990
	.amdgpu_metadata
---
amdhsa.kernels:
  - .args:
      - .actual_access:  read_only
        .address_space:  global
        .offset:         0
        .size:           8
        .value_kind:     global_buffer
      - .offset:         8
        .size:           8
        .value_kind:     by_value
      - .actual_access:  read_only
        .address_space:  global
        .offset:         16
        .size:           8
        .value_kind:     global_buffer
      - .actual_access:  read_only
        .address_space:  global
        .offset:         24
        .size:           8
        .value_kind:     global_buffer
      - .actual_access:  read_only
        .address_space:  global
        .offset:         32
        .size:           8
        .value_kind:     global_buffer
      - .offset:         40
        .size:           8
        .value_kind:     by_value
      - .actual_access:  read_only
        .address_space:  global
        .offset:         48
        .size:           8
        .value_kind:     global_buffer
      - .actual_access:  read_only
        .address_space:  global
        .offset:         56
        .size:           8
        .value_kind:     global_buffer
      - .offset:         64
        .size:           4
        .value_kind:     by_value
      - .actual_access:  read_only
        .address_space:  global
        .offset:         72
        .size:           8
        .value_kind:     global_buffer
      - .actual_access:  read_only
        .address_space:  global
        .offset:         80
        .size:           8
        .value_kind:     global_buffer
      - .actual_access:  read_only
        .address_space:  global
        .offset:         88
        .size:           8
        .value_kind:     global_buffer
      - .actual_access:  write_only
        .address_space:  global
        .offset:         96
        .size:           8
        .value_kind:     global_buffer
    .group_segment_fixed_size: 0
    .kernarg_segment_align: 8
    .kernarg_segment_size: 104
    .language:       OpenCL C
    .language_version:
      - 2
      - 0
    .max_flat_workgroup_size: 108
    .name:           fft_rtc_fwd_len3240_factors_3_3_10_6_6_wgs_108_tpt_108_halfLds_dp_op_CI_CI_sbrr_dirReg
    .private_segment_fixed_size: 12
    .sgpr_count:     45
    .sgpr_spill_count: 0
    .symbol:         fft_rtc_fwd_len3240_factors_3_3_10_6_6_wgs_108_tpt_108_halfLds_dp_op_CI_CI_sbrr_dirReg.kd
    .uniform_work_group_size: 1
    .uses_dynamic_stack: false
    .vgpr_count:     256
    .vgpr_spill_count: 2
    .wavefront_size: 32
    .workgroup_processor_mode: 1
amdhsa.target:   amdgcn-amd-amdhsa--gfx1201
amdhsa.version:
  - 1
  - 2
...

	.end_amdgpu_metadata
